;; amdgpu-corpus repo=ROCm/rocFFT kind=compiled arch=gfx950 opt=O3
	.text
	.amdgcn_target "amdgcn-amd-amdhsa--gfx950"
	.amdhsa_code_object_version 6
	.protected	bluestein_single_fwd_len160_dim1_sp_op_CI_CI ; -- Begin function bluestein_single_fwd_len160_dim1_sp_op_CI_CI
	.globl	bluestein_single_fwd_len160_dim1_sp_op_CI_CI
	.p2align	8
	.type	bluestein_single_fwd_len160_dim1_sp_op_CI_CI,@function
bluestein_single_fwd_len160_dim1_sp_op_CI_CI: ; @bluestein_single_fwd_len160_dim1_sp_op_CI_CI
; %bb.0:
	s_load_dwordx4 s[8:11], s[0:1], 0x28
	v_lshrrev_b32_e32 v1, 4, v0
	v_lshl_or_b32 v48, s2, 4, v1
	v_mov_b32_e32 v49, 0
	s_waitcnt lgkmcnt(0)
	v_cmp_gt_u64_e32 vcc, s[8:9], v[48:49]
	s_and_saveexec_b64 s[2:3], vcc
	s_cbranch_execz .LBB0_15
; %bb.1:
	s_load_dwordx2 s[8:9], s[0:1], 0x0
	s_load_dwordx2 s[12:13], s[0:1], 0x38
	v_and_b32_e32 v70, 15, v0
	v_mul_u32_u24_e32 v71, 0xa0, v1
	v_cmp_gt_u32_e32 vcc, 10, v70
	v_lshlrev_b32_e32 v49, 3, v70
	v_or_b32_e32 v36, v71, v70
	v_add_lshl_u32 v9, v71, v70, 3
	s_and_saveexec_b64 s[2:3], vcc
	s_cbranch_execz .LBB0_3
; %bb.2:
	s_load_dwordx2 s[4:5], s[0:1], 0x18
	v_mov_b32_e32 v0, s10
	v_mov_b32_e32 v1, s11
	s_waitcnt lgkmcnt(0)
	s_load_dwordx4 s[4:7], s[4:5], 0x0
	s_waitcnt lgkmcnt(0)
	v_mad_u64_u32 v[2:3], s[10:11], s6, v48, 0
	v_mad_u64_u32 v[4:5], s[10:11], s4, v70, 0
	v_mov_b32_e32 v6, v3
	v_mov_b32_e32 v8, v5
	v_mad_u64_u32 v[6:7], s[6:7], s7, v48, v[6:7]
	v_mov_b32_e32 v3, v6
	v_mad_u64_u32 v[6:7], s[6:7], s5, v70, v[8:9]
	v_mov_b32_e32 v5, v6
	v_lshl_add_u64 v[0:1], v[2:3], 3, v[0:1]
	v_lshl_add_u64 v[2:3], v[4:5], 3, v[0:1]
	v_mov_b32_e32 v8, 0x50
	s_mulk_i32 s5, 0x50
	v_mad_u64_u32 v[6:7], s[6:7], s4, v8, v[2:3]
	v_add_u32_e32 v7, s5, v7
	v_mad_u64_u32 v[14:15], s[6:7], s4, v8, v[6:7]
	v_add_u32_e32 v15, s5, v15
	global_load_dwordx2 v[0:1], v[2:3], off
	global_load_dwordx2 v[4:5], v49, s[8:9]
	s_nop 0
	global_load_dwordx2 v[2:3], v49, s[8:9] offset:80
	global_load_dwordx2 v[10:11], v49, s[8:9] offset:160
	;; [unrolled: 1-line block ×3, first 2 shown]
	global_load_dwordx2 v[16:17], v[6:7], off
	global_load_dwordx2 v[18:19], v[14:15], off
	v_mad_u64_u32 v[6:7], s[6:7], s4, v8, v[14:15]
	v_add_u32_e32 v7, s5, v7
	global_load_dwordx2 v[14:15], v49, s[8:9] offset:320
	global_load_dwordx2 v[20:21], v49, s[8:9] offset:400
	;; [unrolled: 1-line block ×4, first 2 shown]
	global_load_dwordx2 v[26:27], v[6:7], off
	v_mad_u64_u32 v[6:7], s[6:7], s4, v8, v[6:7]
	v_add_u32_e32 v7, s5, v7
	global_load_dwordx2 v[28:29], v[6:7], off
	v_mad_u64_u32 v[6:7], s[6:7], s4, v8, v[6:7]
	v_add_u32_e32 v7, s5, v7
	global_load_dwordx2 v[30:31], v[6:7], off
	global_load_dwordx2 v[32:33], v49, s[8:9] offset:640
	global_load_dwordx2 v[34:35], v49, s[8:9] offset:720
	;; [unrolled: 1-line block ×4, first 2 shown]
	v_mad_u64_u32 v[6:7], s[6:7], s4, v8, v[6:7]
	v_add_u32_e32 v7, s5, v7
	global_load_dwordx2 v[42:43], v[6:7], off
	v_mad_u64_u32 v[6:7], s[6:7], s4, v8, v[6:7]
	v_add_u32_e32 v7, s5, v7
	global_load_dwordx2 v[44:45], v[6:7], off
	;; [unrolled: 3-line block ×7, first 2 shown]
	v_mad_u64_u32 v[6:7], s[6:7], s4, v8, v[6:7]
	v_add_u32_e32 v7, s5, v7
	global_load_dwordx2 v[58:59], v49, s[8:9] offset:960
	global_load_dwordx2 v[60:61], v[6:7], off
	global_load_dwordx2 v[62:63], v49, s[8:9] offset:1040
	v_mad_u64_u32 v[6:7], s[6:7], s4, v8, v[6:7]
	v_add_u32_e32 v7, s5, v7
	global_load_dwordx2 v[64:65], v[6:7], off
	global_load_dwordx2 v[66:67], v49, s[8:9] offset:1120
	v_mad_u64_u32 v[6:7], s[6:7], s4, v8, v[6:7]
	v_add_u32_e32 v7, s5, v7
	global_load_dwordx2 v[68:69], v[6:7], off
	global_load_dwordx2 v[72:73], v49, s[8:9] offset:1200
	v_lshlrev_b32_e32 v8, 3, v36
	s_waitcnt vmcnt(30)
	v_mul_f32_e32 v6, v1, v5
	v_mul_f32_e32 v5, v0, v5
	v_fmac_f32_e32 v6, v0, v4
	v_fma_f32 v7, v1, v4, -v5
	s_waitcnt vmcnt(26)
	v_mul_f32_e32 v0, v17, v3
	v_mul_f32_e32 v1, v16, v3
	v_fmac_f32_e32 v0, v16, v2
	v_fma_f32 v1, v17, v2, -v1
	ds_write_b64 v8, v[6:7]
	ds_write_b64 v9, v[0:1] offset:80
	s_waitcnt vmcnt(25)
	v_mul_f32_e32 v0, v19, v11
	v_mul_f32_e32 v1, v18, v11
	s_waitcnt vmcnt(20)
	v_mul_f32_e32 v2, v27, v13
	v_mul_f32_e32 v3, v26, v13
	v_fmac_f32_e32 v0, v18, v10
	v_fma_f32 v1, v19, v10, -v1
	v_fmac_f32_e32 v2, v26, v12
	v_fma_f32 v3, v27, v12, -v3
	v_lshl_add_u32 v4, v71, 3, v49
	ds_write2_b64 v4, v[0:1], v[2:3] offset0:20 offset1:30
	s_waitcnt vmcnt(19)
	v_mul_f32_e32 v0, v29, v15
	v_mul_f32_e32 v1, v28, v15
	s_waitcnt vmcnt(18)
	v_mul_f32_e32 v2, v31, v21
	v_mul_f32_e32 v3, v30, v21
	v_fmac_f32_e32 v0, v28, v14
	v_fma_f32 v1, v29, v14, -v1
	v_fmac_f32_e32 v2, v30, v20
	v_fma_f32 v3, v31, v20, -v3
	ds_write2_b64 v4, v[0:1], v[2:3] offset0:40 offset1:50
	s_waitcnt vmcnt(13)
	v_mul_f32_e32 v0, v43, v23
	v_mul_f32_e32 v1, v42, v23
	s_waitcnt vmcnt(12)
	v_mul_f32_e32 v2, v45, v25
	v_mul_f32_e32 v3, v44, v25
	v_fmac_f32_e32 v0, v42, v22
	v_fma_f32 v1, v43, v22, -v1
	v_fmac_f32_e32 v2, v44, v24
	v_fma_f32 v3, v45, v24, -v3
	;; [unrolled: 11-line block ×6, first 2 shown]
	ds_write2_b64 v4, v[0:1], v[2:3] offset0:140 offset1:150
.LBB0_3:
	s_or_b64 exec, exec, s[2:3]
	s_load_dwordx2 s[2:3], s[0:1], 0x20
	s_load_dwordx2 s[4:5], s[0:1], 0x8
	v_lshlrev_b32_e32 v46, 3, v71
	s_waitcnt lgkmcnt(0)
	s_barrier
	s_waitcnt lgkmcnt(0)
                                        ; implicit-def: $vgpr28
                                        ; implicit-def: $vgpr16
                                        ; implicit-def: $vgpr12
                                        ; implicit-def: $vgpr24
                                        ; implicit-def: $vgpr30
                                        ; implicit-def: $vgpr0
                                        ; implicit-def: $vgpr20
                                        ; implicit-def: $vgpr4
                                        ; implicit-def: $vgpr8
	s_and_saveexec_b64 s[0:1], vcc
	s_cbranch_execz .LBB0_5
; %bb.4:
	v_lshlrev_b32_e32 v8, 3, v36
	v_lshl_add_u32 v10, v70, 3, v46
	ds_read2_b64 v[0:3], v10 offset0:20 offset1:30
	ds_read2_b64 v[4:7], v10 offset0:60 offset1:70
	;; [unrolled: 1-line block ×3, first 2 shown]
	ds_read_b64 v[28:29], v8
	ds_read_b64 v[30:31], v9 offset:80
	ds_read2_b64 v[12:15], v10 offset0:40 offset1:50
	ds_read2_b64 v[16:19], v10 offset0:80 offset1:90
	;; [unrolled: 1-line block ×4, first 2 shown]
.LBB0_5:
	s_or_b64 exec, exec, s[0:1]
	s_waitcnt lgkmcnt(2)
	v_pk_add_f32 v[16:17], v[28:29], v[16:17] neg_lo:[0,1] neg_hi:[0,1]
	s_waitcnt lgkmcnt(1)
	v_pk_add_f32 v[24:25], v[12:13], v[24:25] neg_lo:[0,1] neg_hi:[0,1]
	v_pk_add_f32 v[20:21], v[0:1], v[20:21] neg_lo:[0,1] neg_hi:[0,1]
	s_waitcnt lgkmcnt(0)
	v_pk_add_f32 v[32:33], v[4:5], v[8:9] neg_lo:[0,1] neg_hi:[0,1]
	v_pk_fma_f32 v[8:9], v[28:29], 2.0, v[16:17] op_sel_hi:[1,0,1] neg_lo:[0,0,1] neg_hi:[0,0,1]
	v_pk_fma_f32 v[12:13], v[12:13], 2.0, v[24:25] op_sel_hi:[1,0,1] neg_lo:[0,0,1] neg_hi:[0,0,1]
	;; [unrolled: 1-line block ×4, first 2 shown]
	v_pk_add_f32 v[12:13], v[8:9], v[12:13] neg_lo:[0,1] neg_hi:[0,1]
	v_pk_add_f32 v[4:5], v[0:1], v[4:5] neg_lo:[0,1] neg_hi:[0,1]
	;; [unrolled: 1-line block ×3, first 2 shown]
	v_fma_f32 v40, v0, 2.0, -v4
	v_fma_f32 v43, v1, 2.0, -v5
	v_pk_add_f32 v[0:1], v[12:13], v[4:5] op_sel:[0,1] op_sel_hi:[1,0] neg_lo:[0,1] neg_hi:[0,1]
	v_pk_add_f32 v[44:45], v[12:13], v[4:5] op_sel:[0,1] op_sel_hi:[1,0]
	v_pk_add_f32 v[26:27], v[14:15], v[26:27] neg_lo:[0,1] neg_hi:[0,1]
	v_mov_b32_e32 v1, v45
	v_pk_add_f32 v[50:51], v[16:17], v[24:25] op_sel:[0,1] op_sel_hi:[1,0] neg_lo:[0,1] neg_hi:[0,1]
	v_pk_add_f32 v[4:5], v[16:17], v[24:25] op_sel:[0,1] op_sel_hi:[1,0]
	v_pk_fma_f32 v[30:31], v[30:31], 2.0, v[18:19] op_sel_hi:[1,0,1] neg_lo:[0,0,1] neg_hi:[0,0,1]
	v_pk_fma_f32 v[14:15], v[14:15], 2.0, v[26:27] op_sel_hi:[1,0,1] neg_lo:[0,0,1] neg_hi:[0,0,1]
	;; [unrolled: 1-line block ×4, first 2 shown]
	v_mov_b32_e32 v51, v5
	v_pk_add_f32 v[4:5], v[20:21], v[32:33] op_sel:[0,1] op_sel_hi:[1,0] neg_lo:[0,1] neg_hi:[0,1]
	v_pk_add_f32 v[12:13], v[20:21], v[32:33] op_sel:[0,1] op_sel_hi:[1,0]
	v_pk_add_f32 v[22:23], v[2:3], v[22:23] neg_lo:[0,1] neg_hi:[0,1]
	v_pk_add_f32 v[38:39], v[30:31], v[14:15] neg_lo:[0,1] neg_hi:[0,1]
	v_mov_b32_e32 v5, v13
	v_pk_add_f32 v[10:11], v[6:7], v[10:11] neg_lo:[0,1] neg_hi:[0,1]
	v_pk_fma_f32 v[14:15], v[30:31], 2.0, v[38:39] op_sel_hi:[1,0,1] neg_lo:[0,0,1] neg_hi:[0,0,1]
	v_pk_fma_f32 v[30:31], v[16:17], 2.0, v[50:51] op_sel_hi:[1,0,1] neg_lo:[0,0,1] neg_hi:[0,0,1]
	;; [unrolled: 1-line block ×3, first 2 shown]
	v_pk_add_f32 v[16:17], v[18:19], v[26:27] op_sel:[0,1] op_sel_hi:[1,0] neg_lo:[0,1] neg_hi:[0,1]
	v_pk_add_f32 v[20:21], v[18:19], v[26:27] op_sel:[0,1] op_sel_hi:[1,0]
	v_pk_fma_f32 v[2:3], v[2:3], 2.0, v[22:23] op_sel_hi:[1,0,1] neg_lo:[0,0,1] neg_hi:[0,0,1]
	v_pk_fma_f32 v[6:7], v[6:7], 2.0, v[10:11] op_sel_hi:[1,0,1] neg_lo:[0,0,1] neg_hi:[0,0,1]
	v_mov_b32_e32 v17, v21
	s_mov_b32 s0, 0x3f3504f3
	v_pk_add_f32 v[6:7], v[2:3], v[6:7] neg_lo:[0,1] neg_hi:[0,1]
	v_pk_fma_f32 v[34:35], v[18:19], 2.0, v[16:17] op_sel_hi:[1,0,1] neg_lo:[0,0,1] neg_hi:[0,0,1]
	v_pk_mul_f32 v[18:19], v[12:13], s[0:1] op_sel_hi:[1,0]
	v_pk_fma_f32 v[20:21], v[12:13], s[0:1], v[30:31] op_sel_hi:[1,0,1] neg_lo:[1,0,0] neg_hi:[1,0,0]
	v_fma_f32 v42, v3, 2.0, -v7
	v_mov_b32_e32 v3, v10
	v_mov_b32_e32 v10, v11
	;; [unrolled: 1-line block ×3, first 2 shown]
	v_pk_add_f32 v[12:13], v[20:21], v[18:19] op_sel:[0,1] op_sel_hi:[1,0] neg_lo:[0,1] neg_hi:[0,1]
	v_pk_add_f32 v[18:19], v[20:21], v[18:19] op_sel:[0,1] op_sel_hi:[1,0]
	v_fma_f32 v41, v2, 2.0, -v6
	v_pk_add_f32 v[10:11], v[22:23], v[10:11] neg_lo:[0,1] neg_hi:[0,1]
	v_pk_add_f32 v[2:3], v[2:3], v[22:23]
	v_mov_b32_e32 v13, v19
	v_pk_mul_f32 v[18:19], v[4:5], s[0:1] op_sel_hi:[1,0]
	v_pk_fma_f32 v[20:21], v[4:5], s[0:1], v[50:51] op_sel_hi:[1,0,1]
	v_mov_b32_e32 v11, v3
	v_pk_add_f32 v[4:5], v[20:21], v[18:19] op_sel:[0,1] op_sel_hi:[1,0] neg_lo:[0,1] neg_hi:[0,1]
	v_pk_add_f32 v[18:19], v[20:21], v[18:19] op_sel:[0,1] op_sel_hi:[1,0]
	v_pk_fma_f32 v[2:3], v[22:23], 2.0, v[10:11] op_sel_hi:[1,0,1] neg_lo:[0,0,1] neg_hi:[0,0,1]
	v_mov_b32_e32 v5, v19
	v_pk_mul_f32 v[18:19], v[2:3], s[0:1] op_sel_hi:[1,0]
	v_pk_fma_f32 v[20:21], v[2:3], s[0:1], v[34:35] op_sel_hi:[1,0,1] neg_lo:[1,0,0] neg_hi:[1,0,0]
	v_pk_add_f32 v[22:23], v[38:39], v[6:7] op_sel:[1,0] op_sel_hi:[0,1]
	v_pk_add_f32 v[2:3], v[20:21], v[18:19] op_sel:[0,1] op_sel_hi:[1,0] neg_lo:[0,1] neg_hi:[0,1]
	v_pk_add_f32 v[18:19], v[20:21], v[18:19] op_sel:[0,1] op_sel_hi:[1,0]
	v_pk_add_f32 v[6:7], v[38:39], v[6:7] op_sel:[1,0] op_sel_hi:[0,1] neg_lo:[0,1] neg_hi:[0,1]
	v_mov_b32_e32 v3, v19
	v_mov_b32_e32 v23, v7
	v_fma_f32 v19, v38, 2.0, -v7
	v_pk_fma_f32 v[6:7], v[10:11], s[0:1], v[16:17] op_sel_hi:[1,0,1]
	v_pk_fma_f32 v[32:33], v[50:51], 2.0, v[4:5] op_sel_hi:[1,0,1] neg_lo:[0,0,1] neg_hi:[0,0,1]
	v_fma_f32 v18, v39, 2.0, -v22
	v_pk_fma_f32 v[38:39], v[10:11], s[0:1], v[6:7] op_sel:[0,0,1] op_sel_hi:[1,0,0]
	v_pk_fma_f32 v[50:51], v[10:11], s[0:1], v[6:7] op_sel:[0,0,1] op_sel_hi:[1,0,0] neg_lo:[1,0,0] neg_hi:[1,0,0]
	v_mov_b32_e32 v7, v38
	v_mov_b32_e32 v6, v51
	v_pk_fma_f32 v[20:21], v[16:17], 2.0, v[6:7] op_sel_hi:[1,0,1] neg_lo:[0,0,1] neg_hi:[0,0,1]
	s_mov_b32 s6, 0x3ec3ef15
	s_mov_b32 s10, 0x3f6c835e
	v_pk_fma_f32 v[24:25], v[18:19], s[0:1], v[8:9] op_sel:[0,0,1] op_sel_hi:[1,0,0] neg_lo:[1,0,0] neg_hi:[1,0,0]
	v_mov_b32_e32 v6, v28
	v_mov_b32_e32 v7, v14
	v_mov_b32_e32 v10, v15
	v_mov_b32_e32 v11, v29
	v_pk_fma_f32 v[16:17], v[18:19], s[0:1], v[24:25] op_sel:[0,0,1] op_sel_hi:[1,0,0] neg_lo:[1,0,0] neg_hi:[1,0,0]
	v_pk_fma_f32 v[18:19], v[18:19], s[0:1], v[24:25] op_sel:[0,0,1] op_sel_hi:[1,0,0]
	v_pk_fma_f32 v[24:25], v[20:21], s[6:7], v[32:33] op_sel_hi:[1,0,1] neg_lo:[1,0,0] neg_hi:[1,0,0]
	v_pk_mul_f32 v[20:21], v[20:21], s[10:11] op_sel_hi:[1,0]
	v_pk_add_f32 v[6:7], v[6:7], v[40:41] neg_lo:[0,1] neg_hi:[0,1]
	v_pk_add_f32 v[10:11], v[10:11], v[42:43] neg_lo:[0,1] neg_hi:[0,1]
	v_mov_b32_e32 v17, v19
	v_pk_add_f32 v[18:19], v[24:25], v[20:21] op_sel:[0,1] op_sel_hi:[1,0] neg_lo:[0,1] neg_hi:[0,1]
	v_pk_add_f32 v[20:21], v[24:25], v[20:21] op_sel:[0,1] op_sel_hi:[1,0]
	v_pk_add_f32 v[24:25], v[6:7], v[10:11] neg_lo:[0,1] neg_hi:[0,1]
	v_mov_b32_e32 v19, v21
	v_pk_add_f32 v[20:21], v[6:7], v[10:11]
	v_pk_mul_f32 v[40:41], v[2:3], s[10:11] op_sel_hi:[1,0]
	v_mov_b32_e32 v25, v21
	v_pk_fma_f32 v[20:21], v[2:3], s[6:7], v[12:13] op_sel_hi:[1,0,1]
	v_mov_b32_e32 v50, v38
	v_pk_add_f32 v[26:27], v[20:21], v[40:41] op_sel:[0,1] op_sel_hi:[1,0] neg_lo:[0,1] neg_hi:[0,1]
	v_pk_add_f32 v[20:21], v[20:21], v[40:41] op_sel:[0,1] op_sel_hi:[1,0]
	v_pk_mul_f32 v[52:53], v[50:51], s[10:11] op_sel_hi:[1,0]
	v_mov_b32_e32 v27, v21
	v_mov_b32_e32 v20, v45
	;; [unrolled: 1-line block ×3, first 2 shown]
	v_pk_fma_f32 v[40:41], v[22:23], s[0:1], v[20:21] op_sel_hi:[1,0,1]
	v_lshlrev_b32_e32 v74, 4, v70
	v_pk_fma_f32 v[20:21], v[22:23], s[0:1], v[40:41] op_sel:[0,0,1] op_sel_hi:[1,0,0] neg_lo:[1,0,0] neg_hi:[1,0,0]
	v_pk_fma_f32 v[22:23], v[22:23], s[0:1], v[40:41] op_sel:[0,0,1] op_sel_hi:[1,0,0]
	v_pk_add_f32 v[40:41], v[52:53], v[4:5] op_sel:[1,0] op_sel_hi:[0,1]
	v_mov_b32_e32 v21, v23
	v_pk_fma_f32 v[22:23], v[38:39], s[6:7], v[40:41] op_sel_hi:[1,0,1] neg_lo:[1,0,0] neg_hi:[1,0,0]
	v_pk_fma_f32 v[38:39], v[50:51], s[6:7], v[40:41] op_sel_hi:[1,0,1]
	s_nop 0
	v_mov_b32_e32 v23, v39
	s_barrier
	s_and_saveexec_b64 s[0:1], vcc
	s_cbranch_execz .LBB0_7
; %bb.6:
	v_mov_b32_e32 v42, v6
	v_mov_b32_e32 v43, v11
	;; [unrolled: 1-line block ×4, first 2 shown]
	v_pk_fma_f32 v[38:39], v[28:29], 2.0, v[42:43] op_sel_hi:[1,0,1] neg_lo:[0,0,1] neg_hi:[0,0,1]
	v_pk_fma_f32 v[6:7], v[14:15], 2.0, v[6:7] op_sel_hi:[1,0,1] neg_lo:[0,0,1] neg_hi:[0,0,1]
	;; [unrolled: 1-line block ×3, first 2 shown]
	v_pk_add_f32 v[28:29], v[38:39], v[6:7] neg_lo:[0,1] neg_hi:[0,1]
	v_pk_fma_f32 v[6:7], v[30:31], 2.0, v[12:13] op_sel_hi:[1,0,1] neg_lo:[0,0,1] neg_hi:[0,0,1]
	s_mov_b32 s10, 0xbf6c835e
	v_pk_fma_f32 v[10:11], v[2:3], s[10:11], v[6:7] op_sel_hi:[1,0,1]
	v_pk_mul_f32 v[2:3], v[2:3], s[6:7] op_sel_hi:[1,0]
	v_add_lshl_u32 v37, v71, v74, 3
	v_pk_add_f32 v[30:31], v[10:11], v[2:3] op_sel:[0,1] op_sel_hi:[1,0] neg_lo:[0,1] neg_hi:[0,1]
	v_pk_add_f32 v[10:11], v[10:11], v[2:3] op_sel:[0,1] op_sel_hi:[1,0]
	v_pk_fma_f32 v[38:39], v[38:39], 2.0, v[28:29] op_sel_hi:[1,0,1] neg_lo:[0,0,1] neg_hi:[0,0,1]
	v_mov_b32_e32 v31, v11
	v_pk_fma_f32 v[40:41], v[6:7], 2.0, v[30:31] op_sel_hi:[1,0,1] neg_lo:[0,0,1] neg_hi:[0,0,1]
	v_pk_fma_f32 v[6:7], v[8:9], 2.0, v[16:17] op_sel_hi:[1,0,1] neg_lo:[0,0,1] neg_hi:[0,0,1]
	;; [unrolled: 1-line block ×3, first 2 shown]
	ds_write_b128 v37, v[6:9] offset:16
	v_pk_fma_f32 v[6:7], v[42:43], 2.0, v[24:25] op_sel_hi:[1,0,1] neg_lo:[0,0,1] neg_hi:[0,0,1]
	v_pk_fma_f32 v[8:9], v[12:13], 2.0, v[26:27] op_sel_hi:[1,0,1] neg_lo:[0,0,1] neg_hi:[0,0,1]
	;; [unrolled: 1-line block ×4, first 2 shown]
	ds_write_b128 v37, v[38:41]
	ds_write_b128 v37, v[6:9] offset:32
	ds_write_b128 v37, v[0:3] offset:48
	;; [unrolled: 1-line block ×6, first 2 shown]
.LBB0_7:
	s_or_b64 exec, exec, s[0:1]
	s_movk_i32 s6, 0x48
	v_mov_b64_e32 v[0:1], s[4:5]
	v_mad_u64_u32 v[28:29], s[4:5], v70, s6, v[0:1]
	s_load_dwordx4 s[0:3], s[2:3], 0x0
	s_waitcnt lgkmcnt(0)
	s_barrier
	global_load_dwordx4 v[12:15], v[28:29], off
	global_load_dwordx4 v[8:11], v[28:29], off offset:16
	global_load_dwordx4 v[4:7], v[28:29], off offset:32
	;; [unrolled: 1-line block ×3, first 2 shown]
	global_load_dwordx2 v[50:51], v[28:29], off offset:64
	v_lshlrev_b32_e32 v73, 3, v36
	ds_read2_b64 v[28:31], v73 offset1:16
	ds_read2_b64 v[32:35], v73 offset0:64 offset1:80
	ds_read2_b64 v[36:39], v73 offset0:32 offset1:48
	;; [unrolled: 1-line block ×4, first 2 shown]
	s_mov_b32 s6, 0x3f737871
	s_mov_b32 s10, 0x3f167918
	;; [unrolled: 1-line block ×7, first 2 shown]
	s_waitcnt vmcnt(4)
	v_mov_b32_e32 v44, v15
	s_waitcnt vmcnt(3) lgkmcnt(3)
	v_pk_mul_f32 v[56:57], v[32:33], v[10:11] op_sel_hi:[1,0]
	v_mov_b32_e32 v58, v11
	v_mov_b32_e32 v60, v11
	s_waitcnt vmcnt(2) lgkmcnt(1)
	v_pk_mul_f32 v[62:63], v[40:41], v[6:7] op_sel_hi:[1,0]
	v_mov_b32_e32 v64, v7
	v_mov_b32_e32 v66, v7
	s_waitcnt vmcnt(1)
	v_mov_b32_e32 v68, v3
	v_pk_mul_f32 v[76:77], v[34:35], v[4:5] op_sel:[0,1]
	v_pk_mul_f32 v[82:83], v[30:31], v[12:13] op_sel:[0,1]
	;; [unrolled: 1-line block ×3, first 2 shown]
	v_pk_fma_f32 v[58:59], v[32:33], v[58:59], v[56:57] op_sel:[0,0,1] op_sel_hi:[1,1,0]
	v_pk_fma_f32 v[32:33], v[32:33], v[60:61], v[56:57] op_sel:[0,0,1] op_sel_hi:[1,0,0] neg_lo:[1,0,0] neg_hi:[1,0,0]
	v_pk_fma_f32 v[56:57], v[34:35], v[4:5], v[76:77] op_sel:[0,0,1] op_sel_hi:[1,1,0] neg_lo:[0,0,1] neg_hi:[0,0,1]
	v_pk_fma_f32 v[34:35], v[34:35], v[4:5], v[76:77] op_sel:[0,0,1] op_sel_hi:[1,0,0]
	v_pk_mul_f32 v[44:45], v[36:37], v[44:45] op_sel_hi:[1,0]
	v_pk_fma_f32 v[60:61], v[40:41], v[64:65], v[62:63] op_sel:[0,0,1] op_sel_hi:[1,1,0]
	v_pk_fma_f32 v[40:41], v[40:41], v[66:67], v[62:63] op_sel:[0,0,1] op_sel_hi:[1,0,0] neg_lo:[1,0,0] neg_hi:[1,0,0]
	v_pk_fma_f32 v[66:67], v[30:31], v[12:13], v[82:83] op_sel:[0,0,1] op_sel_hi:[1,1,0] neg_lo:[0,0,1] neg_hi:[0,0,1]
	v_pk_fma_f32 v[30:31], v[30:31], v[12:13], v[82:83] op_sel:[0,0,1] op_sel_hi:[1,0,0]
	s_waitcnt lgkmcnt(0)
	v_pk_mul_f32 v[68:69], v[52:53], v[68:69] op_sel_hi:[1,0]
	v_pk_mul_f32 v[80:81], v[42:43], v[0:1] op_sel:[0,1]
	v_pk_fma_f32 v[64:65], v[38:39], v[8:9], v[78:79] op_sel:[0,0,1] op_sel_hi:[1,1,0] neg_lo:[0,0,1] neg_hi:[0,0,1]
	v_pk_fma_f32 v[38:39], v[38:39], v[8:9], v[78:79] op_sel:[0,0,1] op_sel_hi:[1,0,0]
	v_pk_fma_f32 v[78:79], v[36:37], v[14:15], v[44:45] op_sel:[0,0,1] op_sel_hi:[1,1,0] neg_lo:[0,0,1] neg_hi:[0,0,1]
	v_pk_fma_f32 v[36:37], v[36:37], v[14:15], v[44:45] op_sel:[0,0,1] op_sel_hi:[1,0,0]
	v_mov_b32_e32 v67, v31
	v_mov_b32_e32 v59, v33
	;; [unrolled: 1-line block ×4, first 2 shown]
	v_pk_fma_f32 v[30:31], v[52:53], v[2:3], v[68:69] op_sel:[0,0,1] op_sel_hi:[1,1,0] neg_lo:[0,0,1] neg_hi:[0,0,1]
	v_pk_fma_f32 v[34:35], v[52:53], v[2:3], v[68:69] op_sel:[0,0,1] op_sel_hi:[1,0,0]
	v_pk_fma_f32 v[62:63], v[42:43], v[0:1], v[80:81] op_sel:[0,0,1] op_sel_hi:[1,1,0] neg_lo:[0,0,1] neg_hi:[0,0,1]
	v_pk_fma_f32 v[42:43], v[42:43], v[0:1], v[80:81] op_sel:[0,0,1] op_sel_hi:[1,0,0]
	v_mov_b32_e32 v79, v37
	v_mov_b32_e32 v31, v35
	v_pk_add_f32 v[36:37], v[58:59], v[60:61]
	v_mov_b32_e32 v65, v39
	v_mov_b32_e32 v32, v33
	v_mov_b32_e32 v33, v58
	v_mov_b32_e32 v38, v41
	v_mov_b32_e32 v39, v60
	v_mov_b32_e32 v63, v43
	v_pk_add_f32 v[42:43], v[78:79], v[30:31]
	v_pk_add_f32 v[44:45], v[28:29], v[78:79]
	v_pk_mul_f32 v[36:37], v[36:37], 0.5 op_sel_hi:[1,0]
	v_pk_add_f32 v[34:35], v[58:59], v[60:61] neg_lo:[0,1] neg_hi:[0,1]
	v_pk_add_f32 v[40:41], v[78:79], v[30:31] neg_lo:[0,1] neg_hi:[0,1]
	;; [unrolled: 1-line block ×5, first 2 shown]
	v_pk_fma_f32 v[42:43], v[42:43], 0.5, v[28:29] op_sel_hi:[1,0,1] neg_lo:[1,0,0] neg_hi:[1,0,0]
	v_pk_add_f32 v[28:29], v[28:29], v[36:37] op_sel:[0,1] op_sel_hi:[1,0] neg_lo:[0,1] neg_hi:[0,1]
	v_pk_add_f32 v[32:33], v[44:45], v[32:33]
	s_waitcnt vmcnt(0)
	v_pk_mul_f32 v[84:85], v[54:55], v[50:51] op_sel:[0,1]
	v_pk_add_f32 v[68:69], v[38:39], v[30:31] neg_lo:[0,1] neg_hi:[0,1]
	v_pk_add_f32 v[36:37], v[52:53], v[58:59]
	v_pk_fma_f32 v[52:53], v[34:35], s[6:7], v[42:43] op_sel_hi:[1,0,1] neg_lo:[1,0,0] neg_hi:[1,0,0]
	v_pk_add_f32 v[32:33], v[32:33], v[38:39]
	v_pk_fma_f32 v[38:39], v[40:41], s[6:7], v[28:29] op_sel:[1,0,0] op_sel_hi:[0,0,1]
	v_pk_fma_f32 v[28:29], v[40:41], s[6:7], v[28:29] op_sel:[1,0,0] op_sel_hi:[0,0,1] neg_lo:[1,0,0] neg_hi:[1,0,0]
	v_pk_fma_f32 v[42:43], v[34:35], s[6:7], v[42:43] op_sel_hi:[1,0,1]
	v_pk_fma_f32 v[76:77], v[54:55], v[50:51], v[84:85] op_sel:[0,0,1] op_sel_hi:[1,1,0] neg_lo:[0,0,1] neg_hi:[0,0,1]
	v_pk_fma_f32 v[28:29], v[34:35], s[10:11], v[28:29] op_sel_hi:[1,0,1] neg_lo:[1,0,0] neg_hi:[1,0,0]
	v_pk_fma_f32 v[34:35], v[34:35], s[10:11], v[38:39] op_sel_hi:[1,0,1]
	v_pk_fma_f32 v[38:39], v[40:41], s[10:11], v[42:43] op_sel:[1,0,0] op_sel_hi:[0,0,1] neg_lo:[1,0,0] neg_hi:[1,0,0]
	v_pk_fma_f32 v[42:43], v[54:55], v[50:51], v[84:85] op_sel:[0,0,1] op_sel_hi:[1,0,0]
	v_pk_add_f32 v[44:45], v[60:61], v[68:69]
	v_mov_b32_e32 v77, v43
	v_pk_add_f32 v[42:43], v[56:57], v[62:63]
	v_pk_fma_f32 v[40:41], v[40:41], s[10:11], v[52:53] op_sel:[1,0,0] op_sel_hi:[0,0,1]
	v_pk_fma_f32 v[42:43], v[42:43], 0.5, v[66:67] op_sel_hi:[1,0,1] neg_lo:[1,0,0] neg_hi:[1,0,0]
	v_pk_add_f32 v[52:53], v[64:65], v[76:77] neg_lo:[0,1] neg_hi:[0,1]
	v_pk_add_f32 v[60:61], v[64:65], v[56:57] neg_lo:[0,1] neg_hi:[0,1]
	;; [unrolled: 1-line block ×3, first 2 shown]
	v_pk_fma_f32 v[54:55], v[52:53], s[6:7], v[42:43] op_sel:[1,0,0] op_sel_hi:[0,0,1]
	v_pk_add_f32 v[58:59], v[56:57], v[62:63] neg_lo:[0,1] neg_hi:[0,1]
	v_pk_add_f32 v[60:61], v[60:61], v[68:69]
	v_pk_fma_f32 v[42:43], v[52:53], s[6:7], v[42:43] op_sel:[1,0,0] op_sel_hi:[0,0,1] neg_lo:[1,0,0] neg_hi:[1,0,0]
	v_pk_mul_f32 v[68:69], v[60:61], s[4:5] op_sel_hi:[1,0]
	v_fmamk_f32 v47, v59, 0x3f167918, v54
	v_pk_fma_f32 v[42:43], v[58:59], s[10:11], v[42:43] op_sel:[1,0,0] op_sel_hi:[0,0,1] neg_lo:[1,0,0] neg_hi:[1,0,0]
	v_add_f32_e32 v47, v68, v47
	v_add_f32_e32 v72, v69, v43
	v_pk_add_f32 v[68:69], v[64:65], v[76:77]
	v_pk_fma_f32 v[54:55], v[58:59], s[10:11], v[54:55] op_sel:[1,0,0] op_sel_hi:[0,0,1]
	v_pk_fma_f32 v[68:69], v[68:69], 0.5, v[66:67] op_sel_hi:[1,0,1] neg_lo:[1,0,0] neg_hi:[1,0,0]
	v_pk_add_f32 v[66:67], v[66:67], v[64:65]
	v_mov_b32_e32 v54, v28
	v_pk_add_f32 v[66:67], v[66:67], v[56:57]
	v_pk_add_f32 v[56:57], v[56:57], v[64:65] neg_lo:[0,1] neg_hi:[0,1]
	v_pk_add_f32 v[66:67], v[66:67], v[62:63]
	v_pk_add_f32 v[62:63], v[62:63], v[76:77] neg_lo:[0,1] neg_hi:[0,1]
	v_mov_b32_e32 v43, v55
	v_pk_add_f32 v[56:57], v[56:57], v[62:63]
	v_pk_fma_f32 v[62:63], v[58:59], s[6:7], v[68:69] op_sel:[1,0,0] op_sel_hi:[0,0,1] neg_lo:[1,0,0] neg_hi:[1,0,0]
	v_pk_fma_f32 v[58:59], v[58:59], s[6:7], v[68:69] op_sel:[1,0,0] op_sel_hi:[0,0,1]
	v_pk_mul_f32 v[68:69], v[56:57], s[4:5] op_sel_hi:[1,0]
	v_fmamk_f32 v28, v53, 0x3f167918, v62
	v_pk_fma_f32 v[58:59], v[52:53], s[10:11], v[58:59] op_sel:[1,0,0] op_sel_hi:[0,0,1] neg_lo:[1,0,0] neg_hi:[1,0,0]
	v_pk_fma_f32 v[52:53], v[52:53], s[10:11], v[62:63] op_sel:[1,0,0] op_sel_hi:[0,0,1]
	v_mov_b32_e32 v55, v35
	v_add_f32_e32 v28, v68, v28
	v_add_f32_e32 v35, v69, v59
	v_mov_b32_e32 v59, v53
	v_pk_fma_f32 v[42:43], v[60:61], s[4:5], v[42:43] op_sel_hi:[1,0,1]
	v_pk_fma_f32 v[56:57], v[56:57], s[4:5], v[58:59] op_sel_hi:[1,0,1]
	v_mul_f32_e32 v59, 0xbf737871, v28
	v_mul_f32_e32 v60, 0x3f167918, v72
	;; [unrolled: 1-line block ×3, first 2 shown]
	v_mov_b32_e32 v64, v38
	v_mov_b32_e32 v65, v41
	v_mul_f32_e32 v58, 0x3f737871, v35
	v_fmac_f32_e32 v59, 0x3e9e377a, v35
	v_pk_mul_f32 v[62:63], v[56:57], s[16:17]
	v_pk_mul_f32 v[68:69], v[42:43], s[14:15]
	s_mov_b32 s6, 0xbf4f1bbd
	v_mov_b32_e32 v35, v29
	v_mov_b32_e32 v41, v39
	v_fmac_f32_e32 v60, 0x3f4f1bbd, v47
	v_fmac_f32_e32 v61, 0x3f4f1bbd, v72
	;; [unrolled: 1-line block ×3, first 2 shown]
	v_pk_add_f32 v[78:79], v[32:33], v[30:31]
	v_pk_fma_f32 v[80:81], v[36:37], s[4:5], v[34:35] op_sel_hi:[1,0,1]
	v_pk_fma_f32 v[54:55], v[36:37], s[4:5], v[54:55] op_sel_hi:[1,0,1]
	;; [unrolled: 1-line block ×4, first 2 shown]
	v_pk_add_f32 v[36:37], v[66:67], v[76:77]
	v_pk_fma_f32 v[56:57], v[56:57], s[4:5], v[62:63] op_sel:[0,0,1] op_sel_hi:[1,0,0] neg_lo:[1,0,0] neg_hi:[1,0,0]
	v_pk_fma_f32 v[62:63], v[42:43], s[6:7], v[68:69] op_sel:[0,0,1] op_sel_hi:[1,0,0]
	v_pk_add_f32 v[52:53], v[78:79], v[36:37]
	v_pk_add_f32 v[28:29], v[80:81], v[60:61]
	;; [unrolled: 1-line block ×5, first 2 shown]
	v_pk_add_f32 v[36:37], v[78:79], v[36:37] neg_lo:[0,1] neg_hi:[0,1]
	v_pk_add_f32 v[38:39], v[80:81], v[60:61] neg_lo:[0,1] neg_hi:[0,1]
	;; [unrolled: 1-line block ×5, first 2 shown]
	v_lshl_add_u32 v72, v70, 3, v46
	ds_write2_b64 v73, v[52:53], v[28:29] offset1:16
	ds_write2_b64 v72, v[30:31], v[32:33] offset0:32 offset1:48
	ds_write2_b64 v72, v[34:35], v[36:37] offset0:64 offset1:80
	;; [unrolled: 1-line block ×4, first 2 shown]
	s_waitcnt lgkmcnt(0)
	s_barrier
	s_and_saveexec_b64 s[4:5], vcc
	s_cbranch_execz .LBB0_9
; %bb.8:
	global_load_dwordx2 v[46:47], v49, s[8:9] offset:1280
	s_add_u32 s6, s8, 0x500
	s_addc_u32 s7, s9, 0
	global_load_dwordx2 v[88:89], v49, s[6:7] offset:80
	global_load_dwordx2 v[90:91], v49, s[6:7] offset:160
	;; [unrolled: 1-line block ×15, first 2 shown]
	ds_read_b64 v[54:55], v73
	s_waitcnt vmcnt(15) lgkmcnt(0)
	v_mul_f32_e32 v56, v55, v47
	v_mul_f32_e32 v57, v54, v47
	v_fma_f32 v56, v54, v46, -v56
	v_fmac_f32_e32 v57, v55, v46
	ds_write_b64 v73, v[56:57]
	ds_read2_b64 v[54:57], v72 offset0:10 offset1:20
	ds_read2_b64 v[58:61], v72 offset0:30 offset1:40
	;; [unrolled: 1-line block ×7, first 2 shown]
	ds_read_b64 v[46:47], v72 offset:1200
	s_waitcnt vmcnt(14) lgkmcnt(7)
	v_mul_f32_e32 v119, v54, v89
	v_mul_f32_e32 v75, v55, v89
	s_waitcnt vmcnt(13)
	v_mul_f32_e32 v120, v57, v91
	v_mul_f32_e32 v89, v56, v91
	s_waitcnt vmcnt(12) lgkmcnt(6)
	v_mul_f32_e32 v121, v59, v93
	v_mul_f32_e32 v91, v58, v93
	v_fmac_f32_e32 v119, v55, v88
	s_waitcnt vmcnt(7) lgkmcnt(4)
	v_mul_f32_e32 v55, v68, v103
	v_mul_f32_e32 v122, v61, v95
	;; [unrolled: 1-line block ×10, first 2 shown]
	v_fma_f32 v118, v54, v88, -v75
	s_waitcnt vmcnt(6) lgkmcnt(3)
	v_mul_f32_e32 v75, v77, v105
	v_fma_f32 v88, v56, v90, -v120
	v_fmac_f32_e32 v89, v57, v90
	v_mul_f32_e32 v57, v76, v105
	s_waitcnt vmcnt(5)
	v_mul_f32_e32 v105, v79, v107
	v_mul_f32_e32 v101, v78, v107
	s_waitcnt vmcnt(4) lgkmcnt(2)
	v_mul_f32_e32 v107, v81, v109
	v_fma_f32 v90, v58, v92, -v121
	v_mul_f32_e32 v103, v80, v109
	v_fmac_f32_e32 v91, v59, v92
	s_waitcnt vmcnt(3)
	v_mul_f32_e32 v58, v83, v111
	v_mul_f32_e32 v59, v82, v111
	v_fmac_f32_e32 v55, v69, v102
	v_fma_f32 v92, v60, v94, -v122
	v_fmac_f32_e32 v93, v61, v94
	s_waitcnt vmcnt(2) lgkmcnt(1)
	v_mul_f32_e32 v60, v85, v113
	v_mul_f32_e32 v61, v84, v113
	s_waitcnt vmcnt(1)
	v_mul_f32_e32 v109, v87, v115
	v_fma_f32 v94, v62, v96, -v123
	v_fmac_f32_e32 v95, v63, v96
	v_fma_f32 v96, v64, v98, -v124
	v_fmac_f32_e32 v97, v65, v98
	;; [unrolled: 2-line block ×3, first 2 shown]
	v_fma_f32 v54, v68, v102, -v126
	v_fma_f32 v56, v76, v104, -v75
	v_fmac_f32_e32 v57, v77, v104
	v_fma_f32 v100, v78, v106, -v105
	v_fmac_f32_e32 v101, v79, v106
	;; [unrolled: 2-line block ×4, first 2 shown]
	ds_write2_b64 v72, v[118:119], v[88:89] offset0:10 offset1:20
	ds_write2_b64 v72, v[90:91], v[92:93] offset0:30 offset1:40
	;; [unrolled: 1-line block ×6, first 2 shown]
	v_mul_f32_e32 v55, v86, v115
	v_fma_f32 v60, v84, v112, -v60
	v_fmac_f32_e32 v61, v85, v112
	v_fma_f32 v54, v86, v114, -v109
	v_fmac_f32_e32 v55, v87, v114
	ds_write2_b64 v72, v[60:61], v[54:55] offset0:130 offset1:140
	s_waitcnt vmcnt(0) lgkmcnt(7)
	v_mul_f32_e32 v54, v47, v117
	v_mul_f32_e32 v55, v46, v117
	v_fma_f32 v54, v46, v116, -v54
	v_fmac_f32_e32 v55, v47, v116
	ds_write_b64 v72, v[54:55] offset:1200
.LBB0_9:
	s_or_b64 exec, exec, s[4:5]
	s_waitcnt lgkmcnt(0)
	s_barrier
	s_and_saveexec_b64 s[4:5], vcc
	s_cbranch_execz .LBB0_11
; %bb.10:
	ds_read2_b64 v[28:31], v72 offset0:10 offset1:20
	ds_read2_b64 v[32:35], v72 offset0:30 offset1:40
	;; [unrolled: 1-line block ×7, first 2 shown]
	ds_read_b64 v[52:53], v73
	ds_read_b64 v[22:23], v72 offset:1200
	s_waitcnt lgkmcnt(4)
	v_mov_b32_e32 v24, v20
	v_mov_b32_e32 v25, v21
	s_waitcnt lgkmcnt(3)
	v_mov_b32_e32 v16, v46
	v_mov_b32_e32 v17, v47
	;; [unrolled: 3-line block ×3, first 2 shown]
	v_mov_b32_e32 v26, v54
	v_mov_b32_e32 v27, v55
.LBB0_11:
	s_or_b64 exec, exec, s[4:5]
	v_mov_b32_e32 v60, v14
	v_mov_b32_e32 v61, v14
	v_mov_b32_e32 v14, v15
	v_mov_b32_e32 v56, v10
	v_mov_b32_e32 v57, v10
	v_mov_b32_e32 v10, v11
	v_mov_b32_e32 v54, v6
	v_mov_b32_e32 v55, v6
	v_mov_b32_e32 v6, v7
	v_mov_b32_e32 v46, v2
	v_mov_b32_e32 v47, v2
	v_mov_b32_e32 v2, v3
	v_mov_b32_e32 v68, v12
	v_mov_b32_e32 v69, v12
	v_mov_b32_e32 v12, v13
	v_mov_b32_e32 v66, v8
	v_mov_b32_e32 v67, v8
	v_mov_b32_e32 v8, v9
	v_mov_b32_e32 v64, v4
	v_mov_b32_e32 v65, v4
	v_mov_b32_e32 v4, v5
	v_mov_b32_e32 v62, v0
	v_mov_b32_e32 v63, v0
	v_mov_b32_e32 v0, v1
	v_mov_b32_e32 v58, v50
	v_mov_b32_e32 v59, v50
	v_mov_b32_e32 v50, v51
	s_waitcnt lgkmcnt(0)
	s_barrier
	s_and_saveexec_b64 s[4:5], vcc
	s_cbranch_execz .LBB0_13
; %bb.12:
	v_pk_add_f32 v[76:77], v[30:31], v[16:17] neg_lo:[0,1] neg_hi:[0,1]
	v_pk_add_f32 v[78:79], v[38:39], v[20:21] neg_lo:[0,1] neg_hi:[0,1]
	;; [unrolled: 1-line block ×4, first 2 shown]
	v_pk_fma_f32 v[16:17], v[30:31], 2.0, v[76:77] op_sel_hi:[1,0,1] neg_lo:[0,0,1] neg_hi:[0,0,1]
	v_pk_fma_f32 v[20:21], v[38:39], 2.0, v[78:79] op_sel_hi:[1,0,1] neg_lo:[0,0,1] neg_hi:[0,0,1]
	v_pk_add_f32 v[18:19], v[32:33], v[18:19] neg_lo:[0,1] neg_hi:[0,1]
	v_pk_add_f32 v[22:23], v[40:41], v[22:23] neg_lo:[0,1] neg_hi:[0,1]
	;; [unrolled: 1-line block ×5, first 2 shown]
	v_pk_fma_f32 v[20:21], v[52:53], 2.0, v[42:43] op_sel_hi:[1,0,1] neg_lo:[0,0,1] neg_hi:[0,0,1]
	v_pk_fma_f32 v[34:35], v[34:35], 2.0, v[24:25] op_sel_hi:[1,0,1] neg_lo:[0,0,1] neg_hi:[0,0,1]
	;; [unrolled: 1-line block ×3, first 2 shown]
	v_pk_add_f32 v[34:35], v[20:21], v[34:35] neg_lo:[0,1] neg_hi:[0,1]
	v_pk_fma_f32 v[38:39], v[40:41], 2.0, v[22:23] op_sel_hi:[1,0,1] neg_lo:[0,0,1] neg_hi:[0,0,1]
	v_pk_fma_f32 v[28:29], v[28:29], 2.0, v[44:45] op_sel_hi:[1,0,1] neg_lo:[0,0,1] neg_hi:[0,0,1]
	;; [unrolled: 1-line block ×3, first 2 shown]
	v_pk_add_f32 v[38:39], v[32:33], v[38:39] neg_lo:[0,1] neg_hi:[0,1]
	v_pk_add_f32 v[36:37], v[28:29], v[36:37] neg_lo:[0,1] neg_hi:[0,1]
	v_pk_fma_f32 v[20:21], v[20:21], 2.0, v[34:35] op_sel_hi:[1,0,1] neg_lo:[0,0,1] neg_hi:[0,0,1]
	v_pk_fma_f32 v[16:17], v[16:17], 2.0, v[30:31] op_sel_hi:[1,0,1] neg_lo:[0,0,1] neg_hi:[0,0,1]
	v_add_lshl_u32 v71, v71, v74, 3
	v_pk_add_f32 v[40:41], v[20:21], v[16:17] neg_lo:[0,1] neg_hi:[0,1]
	v_pk_fma_f32 v[16:17], v[28:29], 2.0, v[36:37] op_sel_hi:[1,0,1] neg_lo:[0,0,1] neg_hi:[0,0,1]
	v_pk_fma_f32 v[28:29], v[32:33], 2.0, v[38:39] op_sel_hi:[1,0,1] neg_lo:[0,0,1] neg_hi:[0,0,1]
	v_pk_add_f32 v[74:75], v[76:77], v[78:79] op_sel:[0,1] op_sel_hi:[1,0]
	v_pk_add_f32 v[52:53], v[16:17], v[28:29] neg_lo:[0,1] neg_hi:[0,1]
	v_pk_add_f32 v[28:29], v[76:77], v[78:79] op_sel:[0,1] op_sel_hi:[1,0] neg_lo:[0,1] neg_hi:[0,1]
	v_pk_add_f32 v[78:79], v[42:43], v[24:25] op_sel:[0,1] op_sel_hi:[1,0]
	v_pk_add_f32 v[24:25], v[42:43], v[24:25] op_sel:[0,1] op_sel_hi:[1,0] neg_lo:[0,1] neg_hi:[0,1]
	v_pk_add_f32 v[80:81], v[18:19], v[22:23] op_sel:[0,1] op_sel_hi:[1,0]
	v_pk_add_f32 v[22:23], v[18:19], v[22:23] op_sel:[0,1] op_sel_hi:[1,0] neg_lo:[0,1] neg_hi:[0,1]
	v_mov_b32_e32 v75, v29
	v_mov_b32_e32 v79, v25
	v_mov_b32_e32 v81, v23
	v_pk_add_f32 v[82:83], v[44:45], v[26:27] op_sel:[0,1] op_sel_hi:[1,0]
	v_pk_add_f32 v[22:23], v[44:45], v[26:27] op_sel:[0,1] op_sel_hi:[1,0] neg_lo:[0,1] neg_hi:[0,1]
	s_mov_b32 s6, 0x3f3504f3
	v_mov_b32_e32 v83, v23
	v_pk_fma_f32 v[22:23], v[76:77], 2.0, v[74:75] op_sel_hi:[1,0,1] neg_lo:[0,0,1] neg_hi:[0,0,1]
	v_pk_fma_f32 v[26:27], v[42:43], 2.0, v[78:79] op_sel_hi:[1,0,1] neg_lo:[0,0,1] neg_hi:[0,0,1]
	v_pk_mul_f32 v[24:25], v[22:23], s[6:7] op_sel_hi:[1,0]
	v_pk_fma_f32 v[22:23], v[22:23], s[6:7], v[26:27] op_sel_hi:[1,0,1] neg_lo:[1,0,0] neg_hi:[1,0,0]
	v_pk_fma_f32 v[18:19], v[18:19], 2.0, v[80:81] op_sel_hi:[1,0,1] neg_lo:[0,0,1] neg_hi:[0,0,1]
	v_pk_add_f32 v[42:43], v[22:23], v[24:25] op_sel:[0,1] op_sel_hi:[1,0]
	v_pk_add_f32 v[28:29], v[22:23], v[24:25] op_sel:[0,1] op_sel_hi:[1,0] neg_lo:[0,1] neg_hi:[0,1]
	v_pk_fma_f32 v[24:25], v[44:45], 2.0, v[82:83] op_sel_hi:[1,0,1] neg_lo:[0,0,1] neg_hi:[0,0,1]
	v_pk_mul_f32 v[22:23], v[18:19], s[6:7] op_sel_hi:[1,0]
	v_pk_fma_f32 v[18:19], v[18:19], s[6:7], v[24:25] op_sel_hi:[1,0,1] neg_lo:[1,0,0] neg_hi:[1,0,0]
	v_mov_b32_e32 v43, v29
	v_pk_add_f32 v[44:45], v[18:19], v[22:23] op_sel:[0,1] op_sel_hi:[1,0]
	v_pk_add_f32 v[32:33], v[18:19], v[22:23] op_sel:[0,1] op_sel_hi:[1,0] neg_lo:[0,1] neg_hi:[0,1]
	s_mov_b32 s14, 0x3ec3ef15
	v_mov_b32_e32 v45, v33
	v_fmamk_f32 v28, v44, 0x3ec3ef15, v42
	s_mov_b32 s10, 0x3f6c835e
	v_pk_fma_f32 v[18:19], v[24:25], 2.0, v[44:45] op_sel_hi:[1,0,1] neg_lo:[0,0,1] neg_hi:[0,0,1]
	v_pk_fma_f32 v[22:23], v[26:27], 2.0, v[42:43] op_sel_hi:[1,0,1] neg_lo:[0,0,1] neg_hi:[0,0,1]
	v_fmac_f32_e32 v28, 0x3f6c835e, v33
	v_pk_mul_f32 v[24:25], v[18:19], s[14:15] op_sel_hi:[1,0]
	v_pk_fma_f32 v[26:27], v[18:19], s[10:11], v[22:23] op_sel_hi:[1,0,1] neg_lo:[1,0,0] neg_hi:[1,0,0]
	v_pk_fma_f32 v[20:21], v[20:21], 2.0, v[40:41] op_sel_hi:[1,0,1] neg_lo:[0,0,1] neg_hi:[0,0,1]
	v_pk_fma_f32 v[16:17], v[16:17], 2.0, v[52:53] op_sel_hi:[1,0,1] neg_lo:[0,0,1] neg_hi:[0,0,1]
	v_fma_f32 v32, v42, 2.0, -v28
	v_pk_add_f32 v[18:19], v[26:27], v[24:25] op_sel:[0,1] op_sel_hi:[1,0]
	v_pk_add_f32 v[42:43], v[26:27], v[24:25] op_sel:[0,1] op_sel_hi:[1,0] neg_lo:[0,1] neg_hi:[0,1]
	v_pk_add_f32 v[16:17], v[20:21], v[16:17] neg_lo:[0,1] neg_hi:[0,1]
	v_mov_b32_e32 v19, v43
	v_pk_add_f32 v[76:77], v[34:35], v[30:31] op_sel:[0,1] op_sel_hi:[1,0]
	v_pk_add_f32 v[84:85], v[34:35], v[30:31] op_sel:[0,1] op_sel_hi:[1,0] neg_lo:[0,1] neg_hi:[0,1]
	v_pk_add_f32 v[86:87], v[36:37], v[38:39] op_sel:[0,1] op_sel_hi:[1,0]
	v_pk_add_f32 v[38:39], v[36:37], v[38:39] op_sel:[0,1] op_sel_hi:[1,0] neg_lo:[0,1] neg_hi:[0,1]
	v_pk_fma_f32 v[20:21], v[20:21], 2.0, v[16:17] op_sel_hi:[1,0,1] neg_lo:[0,0,1] neg_hi:[0,0,1]
	v_pk_fma_f32 v[22:23], v[22:23], 2.0, v[18:19] op_sel_hi:[1,0,1] neg_lo:[0,0,1] neg_hi:[0,0,1]
	v_mov_b32_e32 v77, v85
	v_mov_b32_e32 v87, v39
	ds_write_b128 v71, v[20:23]
	v_pk_fma_f32 v[20:21], v[36:37], 2.0, v[86:87] op_sel_hi:[1,0,1] neg_lo:[0,0,1] neg_hi:[0,0,1]
	v_pk_fma_f32 v[24:25], v[34:35], 2.0, v[76:77] op_sel_hi:[1,0,1] neg_lo:[0,0,1] neg_hi:[0,0,1]
	v_pk_mul_f32 v[22:23], v[20:21], s[6:7] op_sel_hi:[1,0]
	v_pk_fma_f32 v[26:27], v[20:21], s[6:7], v[24:25] op_sel_hi:[1,0,1] neg_lo:[1,0,0] neg_hi:[1,0,0]
	v_pk_fma_f32 v[30:31], v[80:81], s[6:7], v[82:83] op_sel_hi:[1,0,1]
	v_pk_add_f32 v[20:21], v[26:27], v[22:23] op_sel:[0,1] op_sel_hi:[1,0]
	v_pk_add_f32 v[34:35], v[26:27], v[22:23] op_sel:[0,1] op_sel_hi:[1,0] neg_lo:[0,1] neg_hi:[0,1]
	v_pk_mul_f32 v[22:23], v[74:75], s[6:7] op_sel_hi:[1,0]
	v_pk_fma_f32 v[26:27], v[74:75], s[6:7], v[78:79] op_sel_hi:[1,0,1]
	v_mov_b32_e32 v21, v35
	v_pk_add_f32 v[36:37], v[26:27], v[22:23] op_sel:[0,1] op_sel_hi:[1,0]
	v_pk_add_f32 v[22:23], v[26:27], v[22:23] op_sel:[0,1] op_sel_hi:[1,0] neg_lo:[0,1] neg_hi:[0,1]
	v_pk_mul_f32 v[26:27], v[80:81], s[6:7] op_sel_hi:[1,0]
	v_mov_b32_e32 v37, v23
	v_pk_add_f32 v[74:75], v[30:31], v[26:27] op_sel:[0,1] op_sel_hi:[1,0]
	v_pk_add_f32 v[26:27], v[30:31], v[26:27] op_sel:[0,1] op_sel_hi:[1,0] neg_lo:[0,1] neg_hi:[0,1]
	v_fmamk_f32 v81, v74, 0x3f6c835e, v36
	v_fmamk_f32 v19, v27, 0x3f6c835e, v23
	v_mov_b32_e32 v75, v27
	v_fmamk_f32 v34, v74, 0xbec3ef15, v19
	v_fma_f32 v42, v23, 2.0, -v34
	v_fmac_f32_e32 v81, 0x3ec3ef15, v27
	v_pk_fma_f32 v[22:23], v[82:83], 2.0, v[74:75] op_sel_hi:[1,0,1] neg_lo:[0,0,1] neg_hi:[0,0,1]
	v_pk_fma_f32 v[26:27], v[78:79], 2.0, v[36:37] op_sel_hi:[1,0,1] neg_lo:[0,0,1] neg_hi:[0,0,1]
	v_pk_mul_f32 v[30:31], v[22:23], s[10:11] op_sel_hi:[1,0]
	v_pk_fma_f32 v[74:75], v[22:23], s[14:15], v[26:27] op_sel_hi:[1,0,1] neg_lo:[1,0,0] neg_hi:[1,0,0]
	v_pk_fma_f32 v[24:25], v[24:25], 2.0, v[20:21] op_sel_hi:[1,0,1] neg_lo:[0,0,1] neg_hi:[0,0,1]
	v_pk_add_f32 v[22:23], v[74:75], v[30:31] op_sel:[0,1] op_sel_hi:[1,0]
	v_pk_add_f32 v[74:75], v[74:75], v[30:31] op_sel:[0,1] op_sel_hi:[1,0] neg_lo:[0,1] neg_hi:[0,1]
	s_mov_b32 s15, s6
	v_mov_b32_e32 v23, v75
	v_pk_fma_f32 v[26:27], v[26:27], 2.0, v[22:23] op_sel_hi:[1,0,1] neg_lo:[0,0,1] neg_hi:[0,0,1]
	ds_write_b128 v71, v[24:27] offset:16
	v_pk_add_f32 v[26:27], v[40:41], v[52:53] op_sel:[0,1] op_sel_hi:[1,0]
	v_pk_add_f32 v[24:25], v[40:41], v[52:53] op_sel:[0,1] op_sel_hi:[1,0] neg_lo:[0,1] neg_hi:[0,1]
	v_mov_b32_e32 v45, v39
	v_mov_b32_e32 v27, v25
	v_pk_fma_f32 v[30:31], v[40:41], 2.0, v[26:27] op_sel_hi:[1,0,1] neg_lo:[0,0,1] neg_hi:[0,0,1]
	ds_write_b96 v71, v[30:32] offset:32
	v_mov_b32_e32 v30, v33
	v_mov_b32_e32 v31, v86
	v_mov_b32_e32 v32, v29
	v_mov_b32_e32 v33, v76
	s_mov_b32 s11, s6
	v_pk_fma_f32 v[30:31], v[30:31], s[14:15], v[32:33]
	v_fmamk_f32 v19, v39, 0x3f3504f3, v85
	v_pk_fma_f32 v[38:39], v[44:45], s[10:11], v[30:31] neg_lo:[1,0,0] neg_hi:[1,0,0]
	v_pk_fma_f32 v[30:31], v[44:45], s[10:11], v[30:31]
	v_fmamk_f32 v80, v86, 0xbf3504f3, v19
	v_mov_b32_e32 v39, v31
	v_pk_fma_f32 v[30:31], v[32:33], 2.0, v[38:39] op_sel_hi:[1,0,1] neg_lo:[0,0,1] neg_hi:[0,0,1]
	ds_write2_b32 v71, v30, v31 offset0:11 offset1:12
	v_mov_b32_e32 v30, v85
	v_mov_b32_e32 v31, v36
	v_pk_fma_f32 v[30:31], v[30:31], 2.0, v[80:81] op_sel_hi:[1,0,1] neg_lo:[0,0,1] neg_hi:[0,0,1]
	v_mov_b32_e32 v19, v43
	ds_write2_b32 v71, v30, v31 offset0:13 offset1:14
	ds_write_b128 v71, v[16:19] offset:64
	ds_write_b128 v71, v[20:23] offset:80
	ds_write_b96 v71, v[26:28] offset:96
	ds_write2_b32 v71, v38, v39 offset0:27 offset1:28
	ds_write2_b32 v71, v80, v81 offset0:29 offset1:30
	;; [unrolled: 1-line block ×3, first 2 shown]
.LBB0_13:
	s_or_b64 exec, exec, s[4:5]
	s_waitcnt lgkmcnt(0)
	s_barrier
	ds_read2_b64 v[16:19], v73 offset1:16
	ds_read2_b64 v[20:23], v73 offset0:32 offset1:48
	ds_read2_b64 v[24:27], v73 offset0:64 offset1:80
	;; [unrolled: 1-line block ×4, first 2 shown]
	s_waitcnt lgkmcnt(4)
	v_pk_mul_f32 v[12:13], v[12:13], v[18:19]
	s_waitcnt lgkmcnt(3)
	v_pk_mul_f32 v[14:15], v[14:15], v[20:21]
	;; [unrolled: 2-line block ×3, first 2 shown]
	v_pk_fma_f32 v[36:37], v[68:69], v[18:19], v[12:13] op_sel:[0,0,1] op_sel_hi:[1,1,0]
	s_waitcnt lgkmcnt(0)
	v_pk_mul_f32 v[2:3], v[2:3], v[32:33]
	v_pk_fma_f32 v[12:13], v[68:69], v[18:19], v[12:13] op_sel:[0,0,1] op_sel_hi:[1,1,0] neg_lo:[0,0,1] neg_hi:[0,0,1]
	v_pk_fma_f32 v[18:19], v[60:61], v[20:21], v[14:15] op_sel:[0,0,1] op_sel_hi:[1,1,0]
	v_pk_fma_f32 v[14:15], v[60:61], v[20:21], v[14:15] op_sel:[0,0,1] op_sel_hi:[1,1,0] neg_lo:[0,0,1] neg_hi:[0,0,1]
	v_pk_mul_f32 v[8:9], v[8:9], v[22:23]
	v_pk_fma_f32 v[20:21], v[56:57], v[24:25], v[10:11] op_sel:[0,0,1] op_sel_hi:[1,1,0]
	v_pk_fma_f32 v[10:11], v[56:57], v[24:25], v[10:11] op_sel:[0,0,1] op_sel_hi:[1,1,0] neg_lo:[0,0,1] neg_hi:[0,0,1]
	v_pk_mul_f32 v[6:7], v[6:7], v[28:29]
	v_pk_fma_f32 v[24:25], v[46:47], v[32:33], v[2:3] op_sel:[0,0,1] op_sel_hi:[1,1,0]
	v_pk_fma_f32 v[2:3], v[46:47], v[32:33], v[2:3] op_sel:[0,0,1] op_sel_hi:[1,1,0] neg_lo:[0,0,1] neg_hi:[0,0,1]
	v_mov_b32_e32 v19, v15
	v_pk_fma_f32 v[14:15], v[66:67], v[22:23], v[8:9] op_sel:[0,0,1] op_sel_hi:[1,1,0]
	v_pk_fma_f32 v[8:9], v[66:67], v[22:23], v[8:9] op_sel:[0,0,1] op_sel_hi:[1,1,0] neg_lo:[0,0,1] neg_hi:[0,0,1]
	v_pk_mul_f32 v[4:5], v[4:5], v[26:27]
	v_pk_fma_f32 v[22:23], v[54:55], v[28:29], v[6:7] op_sel:[0,0,1] op_sel_hi:[1,1,0]
	v_pk_fma_f32 v[6:7], v[54:55], v[28:29], v[6:7] op_sel:[0,0,1] op_sel_hi:[1,1,0] neg_lo:[0,0,1] neg_hi:[0,0,1]
	v_pk_mul_f32 v[0:1], v[0:1], v[30:31]
	v_mov_b32_e32 v25, v3
	v_pk_mul_f32 v[2:3], v[50:51], v[34:35]
	v_mov_b32_e32 v21, v11
	v_pk_fma_f32 v[10:11], v[64:65], v[26:27], v[4:5] op_sel:[0,0,1] op_sel_hi:[1,1,0]
	v_pk_fma_f32 v[4:5], v[64:65], v[26:27], v[4:5] op_sel:[0,0,1] op_sel_hi:[1,1,0] neg_lo:[0,0,1] neg_hi:[0,0,1]
	v_mov_b32_e32 v23, v7
	v_pk_fma_f32 v[6:7], v[62:63], v[30:31], v[0:1] op_sel:[0,0,1] op_sel_hi:[1,1,0]
	v_pk_fma_f32 v[26:27], v[58:59], v[34:35], v[2:3] op_sel:[0,0,1] op_sel_hi:[1,1,0]
	v_mov_b32_e32 v38, v14
	v_mov_b32_e32 v39, v26
	;; [unrolled: 1-line block ×4, first 2 shown]
	v_pk_fma_f32 v[0:1], v[62:63], v[30:31], v[0:1] op_sel:[0,0,1] op_sel_hi:[1,1,0] neg_lo:[0,0,1] neg_hi:[0,0,1]
	v_pk_add_f32 v[42:43], v[38:39], v[40:41] neg_lo:[0,1] neg_hi:[0,1]
	v_mov_b32_e32 v11, v5
	v_mov_b32_e32 v7, v1
	v_pk_fma_f32 v[2:3], v[58:59], v[34:35], v[2:3] op_sel:[0,0,1] op_sel_hi:[1,1,0] neg_lo:[0,0,1] neg_hi:[0,0,1]
	v_mov_b32_e32 v0, v43
	v_mov_b32_e32 v15, v9
	;; [unrolled: 1-line block ×3, first 2 shown]
	v_pk_add_f32 v[30:31], v[10:11], v[6:7]
	v_pk_add_f32 v[34:35], v[10:11], v[6:7] neg_lo:[0,1] neg_hi:[0,1]
	v_pk_add_f32 v[42:43], v[42:43], v[0:1]
	s_mov_b32 s4, 0x3e9e377a
	v_fma_f32 v2, -0.5, v30, v36
	v_pk_add_f32 v[32:33], v[14:15], v[26:27] neg_lo:[0,1] neg_hi:[0,1]
	v_mov_b32_e32 v43, v35
	s_mov_b32 s5, 0x3f167918
	v_fmamk_f32 v4, v33, 0xbf737871, v2
	v_pk_mul_f32 v[42:43], v[42:43], s[4:5]
	v_fmac_f32_e32 v2, 0x3f737871, v33
	v_sub_f32_e32 v0, v4, v43
	v_add_f32_e32 v4, v42, v0
	v_add_f32_e32 v0, v43, v2
	v_pk_add_f32 v[38:39], v[40:41], v[38:39] neg_lo:[0,1] neg_hi:[0,1]
	v_add_f32_e32 v8, v42, v0
	v_mov_b32_e32 v0, v39
	v_pk_add_f32 v[42:43], v[14:15], v[26:27]
	v_mov_b32_e32 v2, v36
	v_pk_add_f32 v[38:39], v[38:39], v[0:1]
	v_fmac_f32_e32 v2, -0.5, v42
	v_mov_b32_e32 v39, v33
	v_fmamk_f32 v12, v35, 0x3f737871, v2
	v_pk_mul_f32 v[38:39], v[38:39], s[4:5]
	v_mov_b32_e32 v37, v13
	v_sub_f32_e32 v0, v12, v39
	v_fmac_f32_e32 v2, 0xbf737871, v35
	v_add_f32_e32 v12, v38, v0
	v_add_f32_e32 v0, v39, v2
	v_pk_add_f32 v[14:15], v[36:37], v[14:15]
	v_add_f32_e32 v30, v38, v0
	v_pk_add_f32 v[10:11], v[14:15], v[10:11]
	v_mov_b32_e32 v2, v9
	v_mov_b32_e32 v0, v5
	v_pk_add_f32 v[6:7], v[10:11], v[6:7]
	v_pk_add_f32 v[10:11], v[2:3], v[0:1] neg_lo:[0,1] neg_hi:[0,1]
	v_fma_f32 v15, -0.5, v31, v13
	v_mov_b32_e32 v14, v11
	v_pk_add_f32 v[10:11], v[10:11], v[14:15]
	v_pk_add_f32 v[6:7], v[6:7], v[26:27]
	v_mov_b32_e32 v11, v34
	v_fmamk_f32 v26, v32, 0x3f737871, v15
	v_pk_mul_f32 v[10:11], v[10:11], s[4:5]
	v_pk_add_f32 v[0:1], v[0:1], v[2:3] neg_lo:[0,1] neg_hi:[0,1]
	v_add_f32_e32 v5, v11, v26
	v_fmac_f32_e32 v15, 0xbf737871, v32
	v_mov_b32_e32 v2, v1
	v_add_f32_e32 v14, v10, v5
	v_sub_f32_e32 v5, v15, v11
	v_fmac_f32_e32 v13, -0.5, v43
	v_pk_add_f32 v[0:1], v[0:1], v[2:3]
	s_mov_b32 s6, 0x3f737871
	v_add_f32_e32 v10, v10, v5
	v_fmamk_f32 v5, v34, 0xbf737871, v13
	v_mov_b32_e32 v1, v32
	v_fmac_f32_e32 v13, 0x3f737871, v34
	v_pk_add_f32 v[32:33], v[20:21], v[22:23]
	v_pk_add_f32 v[34:35], v[18:19], v[24:25] neg_lo:[0,1] neg_hi:[0,1]
	v_pk_fma_f32 v[32:33], v[32:33], 0.5, v[16:17] op_sel_hi:[1,0,1] neg_lo:[1,0,0] neg_hi:[1,0,0]
	v_pk_mul_f32 v[36:37], v[34:35], s[6:7] op_sel_hi:[1,0]
	v_pk_add_f32 v[38:39], v[20:21], v[22:23] neg_lo:[0,1] neg_hi:[0,1]
	s_mov_b32 s10, s5
	v_pk_add_f32 v[42:43], v[18:19], v[20:21] neg_lo:[0,1] neg_hi:[0,1]
	v_pk_add_f32 v[44:45], v[24:25], v[22:23] neg_lo:[0,1] neg_hi:[0,1]
	s_mov_b32 s14, 0x3f4f1bbd
	v_pk_add_f32 v[28:29], v[16:17], v[18:19]
	v_pk_mul_f32 v[40:41], v[38:39], s[10:11] op_sel_hi:[1,0]
	v_pk_add_f32 v[42:43], v[42:43], v[44:45]
	v_pk_add_f32 v[44:45], v[32:33], v[36:37] op_sel:[0,1] op_sel_hi:[1,0] neg_lo:[0,1] neg_hi:[0,1]
	v_pk_add_f32 v[32:33], v[32:33], v[36:37] op_sel:[0,1] op_sel_hi:[1,0]
	s_mov_b32 s16, s5
	s_mov_b32 s17, s14
	v_pk_add_f32 v[28:29], v[28:29], v[20:21]
	v_pk_mul_f32 v[0:1], v[0:1], s[4:5]
	v_pk_add_f32 v[32:33], v[32:33], v[40:41] op_sel:[0,1] op_sel_hi:[1,0]
	v_pk_add_f32 v[36:37], v[44:45], v[40:41] op_sel:[0,1] op_sel_hi:[1,0] neg_lo:[0,1] neg_hi:[0,1]
	s_mov_b32 s15, s5
	v_pk_mul_f32 v[14:15], v[14:15], s[16:17] op_sel_hi:[0,1]
	v_pk_add_f32 v[28:29], v[28:29], v[22:23]
	v_add_f32_e32 v2, v1, v5
	v_mov_b32_e32 v40, v36
	v_mov_b32_e32 v41, v33
	v_pk_fma_f32 v[44:45], v[4:5], s[14:15], v[14:15] neg_lo:[0,0,1] neg_hi:[0,0,1]
	v_pk_fma_f32 v[4:5], v[4:5], s[14:15], v[14:15] op_sel_hi:[0,1,1]
	v_pk_add_f32 v[28:29], v[28:29], v[24:25]
	v_pk_fma_f32 v[40:41], v[42:43], s[4:5], v[40:41] op_sel_hi:[1,0,1]
	v_mov_b32_e32 v45, v5
	v_pk_add_f32 v[26:27], v[28:29], v[6:7]
	v_pk_add_f32 v[4:5], v[40:41], v[44:45]
	v_add_f32_e32 v2, v0, v2
	ds_write2_b64 v73, v[26:27], v[4:5] offset1:16
	v_pk_add_f32 v[4:5], v[18:19], v[24:25]
	s_mov_b32 s7, s4
	v_pk_fma_f32 v[4:5], v[4:5], 0.5, v[16:17] op_sel_hi:[1,0,1] neg_lo:[1,0,0] neg_hi:[1,0,0]
	v_pk_add_f32 v[14:15], v[20:21], v[18:19] neg_lo:[0,1] neg_hi:[0,1]
	v_pk_add_f32 v[16:17], v[22:23], v[24:25] neg_lo:[0,1] neg_hi:[0,1]
	s_mov_b32 s14, s4
	s_mov_b32 s15, s6
	v_pk_mul_f32 v[2:3], v[2:3], s[6:7] op_sel_hi:[0,1]
	v_pk_add_f32 v[14:15], v[14:15], v[16:17]
	v_pk_fma_f32 v[16:17], v[12:13], s[14:15], v[2:3] neg_lo:[0,0,1] neg_hi:[0,0,1]
	v_pk_fma_f32 v[2:3], v[12:13], s[14:15], v[2:3] op_sel_hi:[0,1,1]
	v_mov_b32_e32 v17, v3
	v_pk_mul_f32 v[2:3], v[38:39], s[6:7] op_sel_hi:[1,0]
	v_sub_f32_e32 v1, v13, v1
	v_pk_mul_f32 v[12:13], v[34:35], s[10:11] op_sel_hi:[1,0]
	v_pk_add_f32 v[18:19], v[4:5], v[2:3] op_sel:[0,1] op_sel_hi:[1,0]
	v_pk_add_f32 v[2:3], v[4:5], v[2:3] op_sel:[0,1] op_sel_hi:[1,0] neg_lo:[0,1] neg_hi:[0,1]
	v_add_f32_e32 v0, v0, v1
	v_pk_add_f32 v[2:3], v[2:3], v[12:13] op_sel:[0,1] op_sel_hi:[1,0]
	v_pk_add_f32 v[4:5], v[18:19], v[12:13] op_sel:[0,1] op_sel_hi:[1,0] neg_lo:[0,1] neg_hi:[0,1]
	v_mov_b32_e32 v13, v3
	v_mov_b32_e32 v12, v4
	s_mov_b32 s10, 0xbe9e377a
	s_mov_b32 s11, s6
	v_pk_mul_f32 v[0:1], v[0:1], s[6:7] op_sel_hi:[0,1]
	v_mov_b32_e32 v3, v5
	v_pk_fma_f32 v[12:13], v[14:15], s[4:5], v[12:13] op_sel_hi:[1,0,1]
	v_pk_fma_f32 v[0:1], v[30:31], s[10:11], v[0:1] op_sel_hi:[0,1,1] neg_lo:[0,0,1] neg_hi:[0,0,1]
	v_pk_fma_f32 v[2:3], v[14:15], s[4:5], v[2:3] op_sel_hi:[1,0,1]
	v_pk_add_f32 v[18:19], v[12:13], v[16:17]
	v_pk_add_f32 v[4:5], v[2:3], v[0:1]
	ds_write2_b64 v72, v[18:19], v[4:5] offset0:32 offset1:48
	s_mov_b32 s6, 0xbf4f1bbd
	s_mov_b32 s7, s5
	v_pk_mul_f32 v[4:5], v[10:11], s[16:17] op_sel_hi:[0,1]
	v_mov_b32_e32 v33, v37
	v_pk_fma_f32 v[4:5], v[8:9], s[6:7], v[4:5] op_sel_hi:[0,1,1] neg_lo:[0,0,1] neg_hi:[0,0,1]
	v_pk_fma_f32 v[8:9], v[42:43], s[4:5], v[32:33] op_sel_hi:[1,0,1]
	v_pk_add_f32 v[6:7], v[28:29], v[6:7] neg_lo:[0,1] neg_hi:[0,1]
	v_pk_add_f32 v[10:11], v[8:9], v[4:5]
	ds_write2_b64 v72, v[10:11], v[6:7] offset0:64 offset1:80
	v_pk_add_f32 v[6:7], v[40:41], v[44:45] neg_lo:[0,1] neg_hi:[0,1]
	v_pk_add_f32 v[10:11], v[12:13], v[16:17] neg_lo:[0,1] neg_hi:[0,1]
	;; [unrolled: 1-line block ×4, first 2 shown]
	ds_write2_b64 v72, v[6:7], v[10:11] offset0:96 offset1:112
	ds_write2_b64 v72, v[0:1], v[2:3] offset0:128 offset1:144
	s_waitcnt lgkmcnt(0)
	s_barrier
	s_and_b64 exec, exec, vcc
	s_cbranch_execz .LBB0_15
; %bb.14:
	global_load_dwordx2 v[8:9], v49, s[8:9]
	global_load_dwordx2 v[10:11], v49, s[8:9] offset:80
	global_load_dwordx2 v[12:13], v49, s[8:9] offset:160
	;; [unrolled: 1-line block ×4, first 2 shown]
	ds_read2_b64 v[4:7], v72 offset0:10 offset1:20
	ds_read2_b64 v[0:3], v72 offset0:30 offset1:40
	global_load_dwordx2 v[16:17], v49, s[8:9] offset:400
	global_load_dwordx2 v[20:21], v49, s[8:9] offset:480
	;; [unrolled: 1-line block ×3, first 2 shown]
	ds_read_b64 v[30:31], v73
	ds_read_b64 v[32:33], v72 offset:1200
	v_mad_u64_u32 v[28:29], s[6:7], s0, v70, 0
	v_mov_b32_e32 v36, v29
	v_mad_u64_u32 v[36:37], s[6:7], s1, v70, v[36:37]
	v_mov_b32_e32 v29, v36
	;; [unrolled: 2-line block ×4, first 2 shown]
	v_mov_b32_e32 v25, s13
	v_mov_b32_e32 v27, v34
	s_mov_b32 s4, 0x9999999a
	v_lshl_add_u64 v[24:25], v[26:27], 3, v[24:25]
	s_mov_b32 s5, 0x3f799999
	v_mov_b32_e32 v38, 0x50
	v_lshl_add_u64 v[24:25], v[28:29], 3, v[24:25]
	s_mul_i32 s2, s1, 0x50
	v_mad_u64_u32 v[26:27], s[6:7], s0, v38, v[24:25]
	v_add_u32_e32 v27, s2, v27
	v_mad_u64_u32 v[28:29], s[6:7], s0, v38, v[26:27]
	v_add_u32_e32 v29, s2, v29
	;; [unrolled: 2-line block ×3, first 2 shown]
	s_waitcnt vmcnt(7) lgkmcnt(1)
	v_mul_f32_e32 v36, v31, v9
	s_waitcnt vmcnt(6)
	v_mul_f32_e32 v37, v5, v11
	s_waitcnt vmcnt(5)
	v_mul_f32_e32 v39, v7, v13
	v_mul_f32_e32 v13, v6, v13
	s_waitcnt vmcnt(4)
	v_mul_f32_e32 v40, v1, v19
	v_mul_f32_e32 v19, v0, v19
	v_fmac_f32_e32 v36, v30, v8
	v_fmac_f32_e32 v37, v4, v10
	v_mul_f32_e32 v9, v30, v9
	v_fmac_f32_e32 v39, v6, v12
	v_fma_f32 v12, v12, v7, -v13
	v_fmac_f32_e32 v40, v0, v18
	v_fma_f32 v30, v18, v1, -v19
	v_cvt_f64_f32_e32 v[0:1], v36
	v_cvt_f64_f32_e32 v[6:7], v37
	global_load_dwordx2 v[36:37], v49, s[8:9] offset:640
	v_mul_f32_e32 v11, v4, v11
	v_fma_f32 v8, v8, v31, -v9
	v_fma_f32 v9, v10, v5, -v11
	v_cvt_f64_f32_e32 v[4:5], v8
	v_cvt_f64_f32_e32 v[10:11], v39
	v_mul_f64 v[0:1], v[0:1], s[4:5]
	v_mul_f64 v[4:5], v[4:5], s[4:5]
	;; [unrolled: 1-line block ×4, first 2 shown]
	v_cvt_f32_f64_e32 v0, v[0:1]
	v_cvt_f32_f64_e32 v1, v[4:5]
	;; [unrolled: 1-line block ×4, first 2 shown]
	global_load_dwordx2 v[10:11], v49, s[8:9] offset:720
	v_cvt_f64_f32_e32 v[8:9], v9
	v_cvt_f64_f32_e32 v[12:13], v12
	;; [unrolled: 1-line block ×4, first 2 shown]
	v_mul_f64 v[8:9], v[8:9], s[4:5]
	v_mul_f64 v[12:13], v[12:13], s[4:5]
	;; [unrolled: 1-line block ×4, first 2 shown]
	v_cvt_f32_f64_e32 v5, v[8:9]
	v_cvt_f32_f64_e32 v7, v[12:13]
	;; [unrolled: 1-line block ×4, first 2 shown]
	global_store_dwordx2 v[24:25], v[0:1], off
	global_store_dwordx2 v[26:27], v[4:5], off
	;; [unrolled: 1-line block ×4, first 2 shown]
	global_load_dwordx2 v[6:7], v49, s[8:9] offset:800
	s_waitcnt vmcnt(10)
	v_mul_f32_e32 v0, v3, v15
	global_load_dwordx2 v[12:13], v49, s[8:9] offset:880
	v_fmac_f32_e32 v0, v2, v14
	v_cvt_f64_f32_e32 v[0:1], v0
	v_mul_f64 v[0:1], v[0:1], s[4:5]
	v_cvt_f32_f64_e32 v4, v[0:1]
	v_mul_f32_e32 v0, v2, v15
	v_fma_f32 v0, v14, v3, -v0
	v_cvt_f64_f32_e32 v[0:1], v0
	v_mul_f64 v[0:1], v[0:1], s[4:5]
	v_cvt_f32_f64_e32 v5, v[0:1]
	ds_read2_b64 v[0:3], v72 offset0:50 offset1:60
	v_mad_u64_u32 v[8:9], s[6:7], s0, v38, v[34:35]
	v_add_u32_e32 v9, s2, v9
	global_store_dwordx2 v[8:9], v[4:5], off
	s_waitcnt vmcnt(11) lgkmcnt(0)
	v_mul_f32_e32 v4, v1, v17
	v_fmac_f32_e32 v4, v0, v16
	v_mul_f32_e32 v0, v0, v17
	v_fma_f32 v0, v16, v1, -v0
	v_cvt_f64_f32_e32 v[4:5], v4
	v_cvt_f64_f32_e32 v[0:1], v0
	v_mul_f64 v[4:5], v[4:5], s[4:5]
	v_mul_f64 v[0:1], v[0:1], s[4:5]
	v_cvt_f32_f64_e32 v4, v[4:5]
	v_cvt_f32_f64_e32 v5, v[0:1]
	s_waitcnt vmcnt(10)
	v_mul_f32_e32 v0, v3, v21
	v_fmac_f32_e32 v0, v2, v20
	v_mad_u64_u32 v[8:9], s[6:7], s0, v38, v[8:9]
	v_cvt_f64_f32_e32 v[0:1], v0
	v_add_u32_e32 v9, s2, v9
	v_mul_f64 v[0:1], v[0:1], s[4:5]
	global_store_dwordx2 v[8:9], v[4:5], off
	v_cvt_f32_f64_e32 v4, v[0:1]
	v_mul_f32_e32 v0, v2, v21
	v_fma_f32 v0, v20, v3, -v0
	v_cvt_f64_f32_e32 v[0:1], v0
	v_mul_f64 v[0:1], v[0:1], s[4:5]
	v_cvt_f32_f64_e32 v5, v[0:1]
	ds_read2_b64 v[0:3], v72 offset0:70 offset1:80
	v_mad_u64_u32 v[8:9], s[6:7], s0, v38, v[8:9]
	v_add_u32_e32 v9, s2, v9
	global_store_dwordx2 v[8:9], v[4:5], off
	s_waitcnt vmcnt(11) lgkmcnt(0)
	v_mul_f32_e32 v4, v1, v23
	v_fmac_f32_e32 v4, v0, v22
	v_mul_f32_e32 v0, v0, v23
	v_fma_f32 v0, v22, v1, -v0
	v_cvt_f64_f32_e32 v[4:5], v4
	v_cvt_f64_f32_e32 v[0:1], v0
	v_mul_f64 v[4:5], v[4:5], s[4:5]
	v_mul_f64 v[0:1], v[0:1], s[4:5]
	v_cvt_f32_f64_e32 v4, v[4:5]
	v_cvt_f32_f64_e32 v5, v[0:1]
	s_waitcnt vmcnt(10)
	v_mul_f32_e32 v0, v3, v37
	v_fmac_f32_e32 v0, v2, v36
	v_mad_u64_u32 v[8:9], s[6:7], s0, v38, v[8:9]
	v_cvt_f64_f32_e32 v[0:1], v0
	v_add_u32_e32 v9, s2, v9
	v_mul_f64 v[0:1], v[0:1], s[4:5]
	global_store_dwordx2 v[8:9], v[4:5], off
	;; [unrolled: 29-line block ×3, first 2 shown]
	v_cvt_f32_f64_e32 v4, v[0:1]
	v_mul_f32_e32 v0, v2, v7
	v_fma_f32 v0, v6, v3, -v0
	v_cvt_f64_f32_e32 v[0:1], v0
	v_mul_f64 v[0:1], v[0:1], s[4:5]
	v_cvt_f32_f64_e32 v5, v[0:1]
	ds_read2_b64 v[0:3], v72 offset0:110 offset1:120
	v_mad_u64_u32 v[6:7], s[6:7], s0, v38, v[8:9]
	v_add_u32_e32 v7, s2, v7
	global_store_dwordx2 v[6:7], v[4:5], off
	s_waitcnt vmcnt(7) lgkmcnt(0)
	v_mul_f32_e32 v4, v1, v13
	v_fmac_f32_e32 v4, v0, v12
	v_mul_f32_e32 v0, v0, v13
	v_fma_f32 v0, v12, v1, -v0
	v_cvt_f64_f32_e32 v[4:5], v4
	v_cvt_f64_f32_e32 v[0:1], v0
	v_mul_f64 v[4:5], v[4:5], s[4:5]
	v_mul_f64 v[0:1], v[0:1], s[4:5]
	v_cvt_f32_f64_e32 v4, v[4:5]
	v_cvt_f32_f64_e32 v5, v[0:1]
	v_mad_u64_u32 v[0:1], s[6:7], s0, v38, v[6:7]
	v_add_u32_e32 v1, s2, v1
	global_store_dwordx2 v[0:1], v[4:5], off
	global_load_dwordx2 v[4:5], v49, s[8:9] offset:960
	s_waitcnt vmcnt(0)
	v_mul_f32_e32 v6, v3, v5
	v_fmac_f32_e32 v6, v2, v4
	v_mul_f32_e32 v2, v2, v5
	v_fma_f32 v2, v4, v3, -v2
	v_cvt_f64_f32_e32 v[6:7], v6
	v_cvt_f64_f32_e32 v[2:3], v2
	v_mul_f64 v[6:7], v[6:7], s[4:5]
	v_mul_f64 v[2:3], v[2:3], s[4:5]
	v_mad_u64_u32 v[4:5], s[6:7], s0, v38, v[0:1]
	v_cvt_f32_f64_e32 v6, v[6:7]
	v_cvt_f32_f64_e32 v7, v[2:3]
	v_add_u32_e32 v5, s2, v5
	global_store_dwordx2 v[4:5], v[6:7], off
	global_load_dwordx2 v[6:7], v49, s[8:9] offset:1040
	ds_read2_b64 v[0:3], v72 offset0:130 offset1:140
	v_mad_u64_u32 v[4:5], s[6:7], s0, v38, v[4:5]
	v_add_u32_e32 v5, s2, v5
	s_waitcnt vmcnt(0) lgkmcnt(0)
	v_mul_f32_e32 v8, v1, v7
	v_mul_f32_e32 v7, v0, v7
	v_fmac_f32_e32 v8, v0, v6
	v_fma_f32 v6, v6, v1, -v7
	v_cvt_f64_f32_e32 v[0:1], v8
	v_cvt_f64_f32_e32 v[6:7], v6
	v_mul_f64 v[0:1], v[0:1], s[4:5]
	v_mul_f64 v[6:7], v[6:7], s[4:5]
	v_cvt_f32_f64_e32 v0, v[0:1]
	v_cvt_f32_f64_e32 v1, v[6:7]
	global_store_dwordx2 v[4:5], v[0:1], off
	global_load_dwordx2 v[0:1], v49, s[8:9] offset:1120
	v_mad_u64_u32 v[4:5], s[6:7], s0, v38, v[4:5]
	v_add_u32_e32 v5, s2, v5
	s_waitcnt vmcnt(0)
	v_mul_f32_e32 v6, v3, v1
	v_mul_f32_e32 v1, v2, v1
	v_fmac_f32_e32 v6, v2, v0
	v_fma_f32 v2, v0, v3, -v1
	v_cvt_f64_f32_e32 v[0:1], v6
	v_cvt_f64_f32_e32 v[2:3], v2
	v_mul_f64 v[0:1], v[0:1], s[4:5]
	v_mul_f64 v[2:3], v[2:3], s[4:5]
	v_cvt_f32_f64_e32 v0, v[0:1]
	v_cvt_f32_f64_e32 v1, v[2:3]
	global_store_dwordx2 v[4:5], v[0:1], off
	global_load_dwordx2 v[0:1], v49, s[8:9] offset:1200
	v_mad_u64_u32 v[2:3], s[0:1], s0, v38, v[4:5]
	v_add_u32_e32 v3, s2, v3
	s_waitcnt vmcnt(0)
	v_mul_f32_e32 v4, v33, v1
	v_mul_f32_e32 v1, v32, v1
	v_fmac_f32_e32 v4, v32, v0
	v_fma_f32 v5, v0, v33, -v1
	v_cvt_f64_f32_e32 v[0:1], v4
	v_cvt_f64_f32_e32 v[4:5], v5
	v_mul_f64 v[0:1], v[0:1], s[4:5]
	v_mul_f64 v[4:5], v[4:5], s[4:5]
	v_cvt_f32_f64_e32 v0, v[0:1]
	v_cvt_f32_f64_e32 v1, v[4:5]
	global_store_dwordx2 v[2:3], v[0:1], off
.LBB0_15:
	s_endpgm
	.section	.rodata,"a",@progbits
	.p2align	6, 0x0
	.amdhsa_kernel bluestein_single_fwd_len160_dim1_sp_op_CI_CI
		.amdhsa_group_segment_fixed_size 20480
		.amdhsa_private_segment_fixed_size 0
		.amdhsa_kernarg_size 104
		.amdhsa_user_sgpr_count 2
		.amdhsa_user_sgpr_dispatch_ptr 0
		.amdhsa_user_sgpr_queue_ptr 0
		.amdhsa_user_sgpr_kernarg_segment_ptr 1
		.amdhsa_user_sgpr_dispatch_id 0
		.amdhsa_user_sgpr_kernarg_preload_length 0
		.amdhsa_user_sgpr_kernarg_preload_offset 0
		.amdhsa_user_sgpr_private_segment_size 0
		.amdhsa_uses_dynamic_stack 0
		.amdhsa_enable_private_segment 0
		.amdhsa_system_sgpr_workgroup_id_x 1
		.amdhsa_system_sgpr_workgroup_id_y 0
		.amdhsa_system_sgpr_workgroup_id_z 0
		.amdhsa_system_sgpr_workgroup_info 0
		.amdhsa_system_vgpr_workitem_id 0
		.amdhsa_next_free_vgpr 127
		.amdhsa_next_free_sgpr 18
		.amdhsa_accum_offset 128
		.amdhsa_reserve_vcc 1
		.amdhsa_float_round_mode_32 0
		.amdhsa_float_round_mode_16_64 0
		.amdhsa_float_denorm_mode_32 3
		.amdhsa_float_denorm_mode_16_64 3
		.amdhsa_dx10_clamp 1
		.amdhsa_ieee_mode 1
		.amdhsa_fp16_overflow 0
		.amdhsa_tg_split 0
		.amdhsa_exception_fp_ieee_invalid_op 0
		.amdhsa_exception_fp_denorm_src 0
		.amdhsa_exception_fp_ieee_div_zero 0
		.amdhsa_exception_fp_ieee_overflow 0
		.amdhsa_exception_fp_ieee_underflow 0
		.amdhsa_exception_fp_ieee_inexact 0
		.amdhsa_exception_int_div_zero 0
	.end_amdhsa_kernel
	.text
.Lfunc_end0:
	.size	bluestein_single_fwd_len160_dim1_sp_op_CI_CI, .Lfunc_end0-bluestein_single_fwd_len160_dim1_sp_op_CI_CI
                                        ; -- End function
	.section	.AMDGPU.csdata,"",@progbits
; Kernel info:
; codeLenInByte = 8304
; NumSgprs: 24
; NumVgprs: 127
; NumAgprs: 0
; TotalNumVgprs: 127
; ScratchSize: 0
; MemoryBound: 0
; FloatMode: 240
; IeeeMode: 1
; LDSByteSize: 20480 bytes/workgroup (compile time only)
; SGPRBlocks: 2
; VGPRBlocks: 15
; NumSGPRsForWavesPerEU: 24
; NumVGPRsForWavesPerEU: 127
; AccumOffset: 128
; Occupancy: 4
; WaveLimiterHint : 1
; COMPUTE_PGM_RSRC2:SCRATCH_EN: 0
; COMPUTE_PGM_RSRC2:USER_SGPR: 2
; COMPUTE_PGM_RSRC2:TRAP_HANDLER: 0
; COMPUTE_PGM_RSRC2:TGID_X_EN: 1
; COMPUTE_PGM_RSRC2:TGID_Y_EN: 0
; COMPUTE_PGM_RSRC2:TGID_Z_EN: 0
; COMPUTE_PGM_RSRC2:TIDIG_COMP_CNT: 0
; COMPUTE_PGM_RSRC3_GFX90A:ACCUM_OFFSET: 31
; COMPUTE_PGM_RSRC3_GFX90A:TG_SPLIT: 0
	.text
	.p2alignl 6, 3212836864
	.fill 256, 4, 3212836864
	.type	__hip_cuid_1de2e88688989b1b,@object ; @__hip_cuid_1de2e88688989b1b
	.section	.bss,"aw",@nobits
	.globl	__hip_cuid_1de2e88688989b1b
__hip_cuid_1de2e88688989b1b:
	.byte	0                               ; 0x0
	.size	__hip_cuid_1de2e88688989b1b, 1

	.ident	"AMD clang version 19.0.0git (https://github.com/RadeonOpenCompute/llvm-project roc-6.4.0 25133 c7fe45cf4b819c5991fe208aaa96edf142730f1d)"
	.section	".note.GNU-stack","",@progbits
	.addrsig
	.addrsig_sym __hip_cuid_1de2e88688989b1b
	.amdgpu_metadata
---
amdhsa.kernels:
  - .agpr_count:     0
    .args:
      - .actual_access:  read_only
        .address_space:  global
        .offset:         0
        .size:           8
        .value_kind:     global_buffer
      - .actual_access:  read_only
        .address_space:  global
        .offset:         8
        .size:           8
        .value_kind:     global_buffer
      - .actual_access:  read_only
        .address_space:  global
        .offset:         16
        .size:           8
        .value_kind:     global_buffer
      - .actual_access:  read_only
        .address_space:  global
        .offset:         24
        .size:           8
        .value_kind:     global_buffer
      - .actual_access:  read_only
        .address_space:  global
        .offset:         32
        .size:           8
        .value_kind:     global_buffer
      - .offset:         40
        .size:           8
        .value_kind:     by_value
      - .address_space:  global
        .offset:         48
        .size:           8
        .value_kind:     global_buffer
      - .address_space:  global
        .offset:         56
        .size:           8
        .value_kind:     global_buffer
      - .address_space:  global
        .offset:         64
        .size:           8
        .value_kind:     global_buffer
      - .address_space:  global
        .offset:         72
        .size:           8
        .value_kind:     global_buffer
      - .offset:         80
        .size:           4
        .value_kind:     by_value
      - .address_space:  global
        .offset:         88
        .size:           8
        .value_kind:     global_buffer
      - .address_space:  global
        .offset:         96
        .size:           8
        .value_kind:     global_buffer
    .group_segment_fixed_size: 20480
    .kernarg_segment_align: 8
    .kernarg_segment_size: 104
    .language:       OpenCL C
    .language_version:
      - 2
      - 0
    .max_flat_workgroup_size: 256
    .name:           bluestein_single_fwd_len160_dim1_sp_op_CI_CI
    .private_segment_fixed_size: 0
    .sgpr_count:     24
    .sgpr_spill_count: 0
    .symbol:         bluestein_single_fwd_len160_dim1_sp_op_CI_CI.kd
    .uniform_work_group_size: 1
    .uses_dynamic_stack: false
    .vgpr_count:     127
    .vgpr_spill_count: 0
    .wavefront_size: 64
amdhsa.target:   amdgcn-amd-amdhsa--gfx950
amdhsa.version:
  - 1
  - 2
...

	.end_amdgpu_metadata
